;; amdgpu-corpus repo=ggml-org/llama.cpp kind=compiled arch=gfx1030 opt=O3
	.amdgcn_target "amdgcn-amd-amdhsa--gfx1030"
	.amdhsa_code_object_version 6
	.section	.text._ZL21gated_linear_attn_f32ILi64EEviiiifPKfS1_S1_S1_S1_Pf,"axG",@progbits,_ZL21gated_linear_attn_f32ILi64EEviiiifPKfS1_S1_S1_S1_Pf,comdat
	.globl	_ZL21gated_linear_attn_f32ILi64EEviiiifPKfS1_S1_S1_S1_Pf ; -- Begin function _ZL21gated_linear_attn_f32ILi64EEviiiifPKfS1_S1_S1_S1_Pf
	.p2align	8
	.type	_ZL21gated_linear_attn_f32ILi64EEviiiifPKfS1_S1_S1_S1_Pf,@function
_ZL21gated_linear_attn_f32ILi64EEviiiifPKfS1_S1_S1_S1_Pf: ; @_ZL21gated_linear_attn_f32ILi64EEviiiifPKfS1_S1_S1_S1_Pf
; %bb.0:
	s_mov_b64 s[22:23], s[2:3]
	s_mov_b64 s[20:21], s[0:1]
	s_clause 0x1
	s_load_dwordx4 s[12:15], s[4:5], 0x0
	s_load_dwordx4 s[0:3], s[4:5], 0x38
	s_add_u32 s20, s20, s7
	s_addc_u32 s21, s21, 0
	v_mov_b32_e32 v127, v0
	s_abs_i32 s10, s6
	s_waitcnt lgkmcnt(0)
	s_abs_i32 s7, s15
	v_cvt_f32_u32_e32 v0, s7
	s_sub_i32 s9, 0, s7
	v_rcp_iflag_f32_e32 v0, v0
	v_mul_f32_e32 v0, 0x4f7ffffe, v0
	v_cvt_u32_f32_e32 v0, v0
	v_readfirstlane_b32 s8, v0
	s_mul_i32 s9, s9, s8
	s_mul_hi_u32 s9, s8, s9
	s_add_i32 s8, s8, s9
	s_xor_b32 s9, s6, s15
	s_mul_hi_u32 s8, s10, s8
	s_ashr_i32 s9, s9, 31
	s_mul_i32 s11, s8, s7
	s_sub_i32 s10, s10, s11
	s_add_i32 s11, s8, 1
	s_sub_i32 s16, s10, s7
	s_cmp_ge_u32 s10, s7
	s_cselect_b32 s8, s11, s8
	s_cselect_b32 s10, s16, s10
	s_add_i32 s11, s8, 1
	s_cmp_ge_u32 s10, s7
	s_cselect_b32 s7, s11, s8
	s_xor_b32 s7, s7, s9
	s_sub_i32 s7, s7, s9
	s_mul_i32 s8, s7, s15
	s_mul_i32 s9, s14, s7
	s_sub_i32 s6, s6, s8
	s_lshl_b32 s8, s9, 6
	s_lshl_b32 s9, s6, 12
	v_add3_u32 v111, s9, s8, v127
	s_abs_i32 s9, s13
	v_add_nc_u32_e32 v3, 0x200, v111
	v_ashrrev_i32_e32 v112, 31, v111
	v_add_nc_u32_e32 v5, 0x240, v111
	v_add_nc_u32_e32 v7, 0x280, v111
	;; [unrolled: 1-line block ×3, first 2 shown]
	v_ashrrev_i32_e32 v4, 31, v3
	v_lshlrev_b64 v[26:27], 2, v[111:112]
	v_ashrrev_i32_e32 v6, 31, v5
	v_add_nc_u32_e32 v11, 0x300, v111
	v_ashrrev_i32_e32 v8, 31, v7
	v_lshlrev_b64 v[28:29], 2, v[3:4]
	v_add_nc_u32_e32 v13, 0x340, v111
	v_add_co_u32 v96, vcc_lo, s0, v26
	v_add_co_ci_u32_e64 v97, null, s1, v27, vcc_lo
	v_add_co_u32 v0, vcc_lo, s0, v28
	v_lshlrev_b64 v[30:31], 2, v[5:6]
	v_add_co_ci_u32_e64 v1, null, s1, v29, vcc_lo
	v_ashrrev_i32_e32 v10, 31, v9
	buffer_store_dword v0, off, s[20:23], 0 ; 4-byte Folded Spill
	buffer_store_dword v1, off, s[20:23], 0 offset:4 ; 4-byte Folded Spill
	v_add_nc_u32_e32 v15, 0x380, v111
	v_add_co_u32 v0, vcc_lo, s0, v30
	v_ashrrev_i32_e32 v12, 31, v11
	v_add_nc_u32_e32 v17, 0x3c0, v111
	v_lshlrev_b64 v[32:33], 2, v[7:8]
	v_add_co_ci_u32_e64 v1, null, s1, v31, vcc_lo
	v_ashrrev_i32_e32 v14, 31, v13
	v_add_nc_u32_e32 v19, 0x400, v111
	v_lshlrev_b64 v[34:35], 2, v[9:10]
	v_ashrrev_i32_e32 v16, 31, v15
	v_add_nc_u32_e32 v21, 0x440, v111
	v_lshlrev_b64 v[36:37], 2, v[11:12]
	v_ashrrev_i32_e32 v18, 31, v17
	buffer_store_dword v0, off, s[20:23], 0 offset:8 ; 4-byte Folded Spill
	buffer_store_dword v1, off, s[20:23], 0 offset:12 ; 4-byte Folded Spill
	v_add_nc_u32_e32 v23, 0x480, v111
	v_lshlrev_b64 v[38:39], 2, v[13:14]
	v_add_co_u32 v0, vcc_lo, s0, v32
	v_ashrrev_i32_e32 v20, 31, v19
	v_lshlrev_b64 v[40:41], 2, v[15:16]
	v_add_co_ci_u32_e64 v1, null, s1, v33, vcc_lo
	v_add_co_u32 v94, vcc_lo, s0, v34
	v_ashrrev_i32_e32 v22, 31, v21
	v_lshlrev_b64 v[42:43], 2, v[17:18]
	v_add_co_ci_u32_e64 v95, null, s1, v35, vcc_lo
	;; [unrolled: 4-line block ×3, first 2 shown]
	v_add_co_u32 v90, vcc_lo, s0, v38
	v_add_nc_u32_e32 v25, 0x4c0, v111
	v_lshlrev_b64 v[46:47], 2, v[21:22]
	v_add_co_ci_u32_e64 v91, null, s1, v39, vcc_lo
	v_add_co_u32 v88, vcc_lo, s0, v40
	v_add_nc_u32_e32 v29, 0x500, v111
	v_add_co_ci_u32_e64 v89, null, s1, v41, vcc_lo
	v_add_co_u32 v18, vcc_lo, s0, v42
	v_lshlrev_b64 v[27:28], 2, v[23:24]
	v_add_co_ci_u32_e64 v19, null, s1, v43, vcc_lo
	v_add_co_u32 v20, vcc_lo, s0, v44
	v_ashrrev_i32_e32 v26, 31, v25
	v_ashrrev_i32_e32 v30, 31, v29
	v_add_co_ci_u32_e64 v21, null, s1, v45, vcc_lo
	v_add_co_u32 v22, vcc_lo, s0, v46
	v_add_co_ci_u32_e64 v23, null, s1, v47, vcc_lo
	v_add_nc_u32_e32 v33, 0x540, v111
	v_add_co_u32 v24, vcc_lo, s0, v27
	v_lshlrev_b64 v[31:32], 2, v[25:26]
	v_add_co_ci_u32_e64 v25, null, s1, v28, vcc_lo
	v_lshlrev_b64 v[28:29], 2, v[29:30]
	v_add_nc_u32_e32 v30, 0x580, v111
	v_ashrrev_i32_e32 v34, 31, v33
	v_add_co_u32 v26, vcc_lo, s0, v31
	v_add_co_ci_u32_e64 v27, null, s1, v32, vcc_lo
	v_ashrrev_i32_e32 v31, 31, v30
	v_lshlrev_b64 v[32:33], 2, v[33:34]
	v_add_nc_u32_e32 v38, 0x600, v111
	v_add_nc_u32_e32 v34, 0x5c0, v111
	v_add_co_u32 v28, vcc_lo, s0, v28
	v_lshlrev_b64 v[36:37], 2, v[30:31]
	v_ashrrev_i32_e32 v39, 31, v38
	v_add_co_ci_u32_e64 v29, null, s1, v29, vcc_lo
	v_add_co_u32 v30, vcc_lo, s0, v32
	v_add_co_ci_u32_e64 v31, null, s1, v33, vcc_lo
	v_add_nc_u32_e32 v40, 0x640, v111
	v_add_co_u32 v32, vcc_lo, s0, v36
	v_ashrrev_i32_e32 v35, 31, v34
	v_add_co_ci_u32_e64 v33, null, s1, v37, vcc_lo
	v_lshlrev_b64 v[36:37], 2, v[38:39]
	v_add_nc_u32_e32 v38, 0x680, v111
	v_ashrrev_i32_e32 v41, 31, v40
	v_lshlrev_b64 v[34:35], 2, v[34:35]
	v_add_nc_u32_e32 v46, 0x700, v111
	v_add_nc_u32_e32 v42, 0x6c0, v111
	v_ashrrev_i32_e32 v39, 31, v38
	v_lshlrev_b64 v[40:41], 2, v[40:41]
	v_add_nc_u32_e32 v48, 0x740, v111
	v_add_co_u32 v34, vcc_lo, s0, v34
	v_lshlrev_b64 v[44:45], 2, v[38:39]
	v_add_co_ci_u32_e64 v35, null, s1, v35, vcc_lo
	v_add_co_u32 v36, vcc_lo, s0, v36
	v_ashrrev_i32_e32 v47, 31, v46
	v_add_co_ci_u32_e64 v37, null, s1, v37, vcc_lo
	v_add_co_u32 v38, vcc_lo, s0, v40
	v_add_co_ci_u32_e64 v39, null, s1, v41, vcc_lo
	v_add_co_u32 v40, vcc_lo, s0, v44
	v_ashrrev_i32_e32 v43, 31, v42
	v_add_co_ci_u32_e64 v41, null, s1, v45, vcc_lo
	v_lshlrev_b64 v[44:45], 2, v[46:47]
	v_add_nc_u32_e32 v46, 0x780, v111
	v_ashrrev_i32_e32 v49, 31, v48
	v_lshlrev_b64 v[42:43], 2, v[42:43]
	v_add_nc_u32_e32 v54, 0x800, v111
	v_add_nc_u32_e32 v50, 0x7c0, v111
	v_ashrrev_i32_e32 v47, 31, v46
	v_lshlrev_b64 v[48:49], 2, v[48:49]
	v_add_nc_u32_e32 v56, 0x840, v111
	v_add_co_u32 v42, vcc_lo, s0, v42
	v_lshlrev_b64 v[52:53], 2, v[46:47]
	v_add_co_ci_u32_e64 v43, null, s1, v43, vcc_lo
	v_add_co_u32 v44, vcc_lo, s0, v44
	v_ashrrev_i32_e32 v55, 31, v54
	v_add_co_ci_u32_e64 v45, null, s1, v45, vcc_lo
	v_add_co_u32 v46, vcc_lo, s0, v48
	v_add_co_ci_u32_e64 v47, null, s1, v49, vcc_lo
	;; [unrolled: 20-line block ×4, first 2 shown]
	v_add_co_u32 v64, vcc_lo, s0, v68
	v_ashrrev_i32_e32 v67, 31, v66
	v_add_co_ci_u32_e64 v65, null, s1, v69, vcc_lo
	v_lshlrev_b64 v[68:69], 2, v[70:71]
	v_add_nc_u32_e32 v70, 0xa80, v111
	v_ashrrev_i32_e32 v73, 31, v72
	v_lshlrev_b64 v[66:67], 2, v[66:67]
	v_add_nc_u32_e32 v74, 0xac0, v111
	v_add_nc_u32_e32 v78, 0xb00, v111
	v_ashrrev_i32_e32 v71, 31, v70
	v_lshlrev_b64 v[72:73], 2, v[72:73]
	v_add_nc_u32_e32 v80, 0xb40, v111
	v_add_co_u32 v66, vcc_lo, s0, v66
	v_lshlrev_b64 v[76:77], 2, v[70:71]
	v_add_co_ci_u32_e64 v67, null, s1, v67, vcc_lo
	v_add_co_u32 v68, vcc_lo, s0, v68
	v_ashrrev_i32_e32 v75, 31, v74
	v_ashrrev_i32_e32 v79, 31, v78
	v_add_co_ci_u32_e64 v69, null, s1, v69, vcc_lo
	v_add_co_u32 v70, vcc_lo, s0, v72
	v_add_co_ci_u32_e64 v71, null, s1, v73, vcc_lo
	v_add_co_u32 v72, vcc_lo, s0, v76
	v_ashrrev_i32_e32 v81, 31, v80
	v_lshlrev_b64 v[74:75], 2, v[74:75]
	v_add_co_ci_u32_e64 v73, null, s1, v77, vcc_lo
	v_lshlrev_b64 v[76:77], 2, v[78:79]
	v_add_nc_u32_e32 v78, 0xb80, v111
	v_add_nc_u32_e32 v82, 0xbc0, v111
	v_lshlrev_b64 v[80:81], 2, v[80:81]
	v_add_co_u32 v74, vcc_lo, s0, v74
	v_ashrrev_i32_e32 v79, 31, v78
	v_ashrrev_i32_e32 v83, 31, v82
	v_add_co_ci_u32_e64 v75, null, s1, v75, vcc_lo
	v_add_co_u32 v76, vcc_lo, s0, v76
	v_add_co_ci_u32_e64 v77, null, s1, v77, vcc_lo
	v_lshlrev_b64 v[84:85], 2, v[78:79]
	v_add_co_u32 v78, vcc_lo, s0, v80
	v_add_nc_u32_e32 v86, 0xc00, v111
	v_add_co_ci_u32_e64 v79, null, s1, v81, vcc_lo
	v_lshlrev_b64 v[80:81], 2, v[82:83]
	v_add_nc_u32_e32 v82, 0xc40, v111
	v_ashrrev_i32_e32 v87, 31, v86
	v_add_co_u32 v16, vcc_lo, s0, v84
	v_add_co_ci_u32_e64 v17, null, s1, v85, vcc_lo
	v_ashrrev_i32_e32 v83, 31, v82
	v_add_co_u32 v14, vcc_lo, s0, v80
	v_lshlrev_b64 v[84:85], 2, v[86:87]
	v_add_nc_u32_e32 v86, 0xc80, v111
	v_add_co_ci_u32_e64 v15, null, s1, v81, vcc_lo
	v_lshlrev_b64 v[80:81], 2, v[82:83]
	v_add_nc_u32_e32 v82, 0xcc0, v111
	v_ashrrev_i32_e32 v87, 31, v86
	v_add_co_u32 v12, vcc_lo, s0, v84
	v_add_co_ci_u32_e64 v13, null, s1, v85, vcc_lo
	v_ashrrev_i32_e32 v83, 31, v82
	v_add_co_u32 v113, vcc_lo, s0, v80
	v_lshlrev_b64 v[84:85], 2, v[86:87]
	v_add_nc_u32_e32 v86, 0xd00, v111
	v_add_co_ci_u32_e64 v114, null, s1, v81, vcc_lo
	v_lshlrev_b64 v[80:81], 2, v[82:83]
	v_add_nc_u32_e32 v82, 0xd40, v111
	v_ashrrev_i32_e32 v87, 31, v86
	v_add_co_u32 v115, vcc_lo, s0, v84
	v_add_co_ci_u32_e64 v116, null, s1, v85, vcc_lo
	v_ashrrev_i32_e32 v83, 31, v82
	v_add_co_u32 v117, vcc_lo, s0, v80
	v_add_nc_u32_e32 v84, 0xd80, v111
	v_lshlrev_b64 v[86:87], 2, v[86:87]
	v_add_co_ci_u32_e64 v118, null, s1, v81, vcc_lo
	v_lshlrev_b64 v[80:81], 2, v[82:83]
	v_add_nc_u32_e32 v82, 0xdc0, v111
	v_ashrrev_i32_e32 v85, 31, v84
	v_add_co_u32 v119, vcc_lo, s0, v86
	v_add_co_ci_u32_e64 v120, null, s1, v87, vcc_lo
	v_ashrrev_i32_e32 v83, 31, v82
	v_add_nc_u32_e32 v86, 0xe00, v111
	v_add_co_u32 v121, vcc_lo, s0, v80
	v_lshlrev_b64 v[84:85], 2, v[84:85]
	v_add_co_ci_u32_e64 v122, null, s1, v81, vcc_lo
	v_lshlrev_b64 v[80:81], 2, v[82:83]
	v_add_nc_u32_e32 v82, 0xe40, v111
	v_ashrrev_i32_e32 v87, 31, v86
	v_add_co_u32 v123, vcc_lo, s0, v84
	v_add_co_ci_u32_e64 v124, null, s1, v85, vcc_lo
	v_ashrrev_i32_e32 v83, 31, v82
	v_lshlrev_b64 v[84:85], 2, v[86:87]
	v_add_nc_u32_e32 v86, 0xe80, v111
	v_add_co_u32 v125, vcc_lo, s0, v80
	v_add_co_ci_u32_e64 v126, null, s1, v81, vcc_lo
	v_lshlrev_b64 v[80:81], 2, v[82:83]
	v_add_nc_u32_e32 v82, 0xec0, v111
	v_ashrrev_i32_e32 v87, 31, v86
	v_add_co_u32 v4, vcc_lo, s0, v84
	v_add_co_ci_u32_e64 v5, null, s1, v85, vcc_lo
	v_ashrrev_i32_e32 v83, 31, v82
	v_lshlrev_b64 v[84:85], 2, v[86:87]
	v_add_nc_u32_e32 v86, 0xf00, v111
	v_add_co_u32 v6, vcc_lo, s0, v80
	;; [unrolled: 10-line block ×3, first 2 shown]
	v_add_co_ci_u32_e64 v11, null, s1, v81, vcc_lo
	v_lshlrev_b64 v[80:81], 2, v[82:83]
	v_add_nc_u32_e32 v82, 0xfc0, v111
	v_ashrrev_i32_e32 v87, 31, v86
	v_add_co_u32 v2, vcc_lo, s0, v84
	buffer_store_dword v0, off, s[20:23], 0 offset:16 ; 4-byte Folded Spill
	buffer_store_dword v1, off, s[20:23], 0 offset:20 ; 4-byte Folded Spill
	v_ashrrev_i32_e32 v83, 31, v82
	v_add_co_ci_u32_e64 v3, null, s1, v85, vcc_lo
	v_lshlrev_b64 v[84:85], 2, v[86:87]
	v_add_co_u32 v0, vcc_lo, s0, v80
	v_add_co_ci_u32_e64 v1, null, s1, v81, vcc_lo
	v_lshlrev_b64 v[80:81], 2, v[82:83]
	v_add_co_u32 v107, vcc_lo, s0, v84
	v_add_co_ci_u32_e64 v108, null, s1, v85, vcc_lo
	s_clause 0x7
	global_load_dword v106, v[96:97], off
	global_load_dword v105, v[96:97], off offset:256
	global_load_dword v104, v[96:97], off offset:512
	;; [unrolled: 1-line block ×7, first 2 shown]
	v_add_co_u32 v109, vcc_lo, s0, v80
	v_add_co_ci_u32_e64 v110, null, s1, v81, vcc_lo
	s_clause 0x1
	buffer_load_dword v80, off, s[20:23], 0
	buffer_load_dword v81, off, s[20:23], 0 offset:4
	s_abs_i32 s0, s12
	s_sub_i32 s8, 0, s0
	s_waitcnt vmcnt(0)
	global_load_dword v98, v[80:81], off
	s_clause 0x1
	buffer_load_dword v80, off, s[20:23], 0 offset:8
	buffer_load_dword v81, off, s[20:23], 0 offset:12
	s_waitcnt vmcnt(0)
	global_load_dword v97, v[80:81], off
	s_clause 0x1
	buffer_load_dword v80, off, s[20:23], 0 offset:16
	buffer_load_dword v81, off, s[20:23], 0 offset:20
	s_waitcnt vmcnt(0)
	s_clause 0x35
	global_load_dword v96, v[80:81], off
	global_load_dword v95, v[94:95], off
	global_load_dword v94, v[92:93], off
	global_load_dword v93, v[90:91], off
	global_load_dword v92, v[88:89], off
	global_load_dword v91, v[18:19], off
	global_load_dword v90, v[20:21], off
	global_load_dword v89, v[22:23], off
	global_load_dword v88, v[24:25], off
	global_load_dword v87, v[26:27], off
	global_load_dword v86, v[28:29], off
	global_load_dword v85, v[30:31], off
	global_load_dword v84, v[32:33], off
	global_load_dword v83, v[34:35], off
	global_load_dword v82, v[36:37], off
	global_load_dword v81, v[38:39], off
	global_load_dword v80, v[40:41], off
	global_load_dword v43, v[42:43], off
	global_load_dword v42, v[44:45], off
	global_load_dword v41, v[46:47], off
	global_load_dword v40, v[48:49], off
	global_load_dword v39, v[50:51], off
	global_load_dword v38, v[52:53], off
	global_load_dword v37, v[54:55], off
	global_load_dword v36, v[56:57], off
	global_load_dword v35, v[58:59], off
	global_load_dword v34, v[60:61], off
	global_load_dword v33, v[62:63], off
	global_load_dword v32, v[64:65], off
	global_load_dword v31, v[66:67], off
	global_load_dword v30, v[68:69], off
	global_load_dword v29, v[70:71], off
	global_load_dword v28, v[72:73], off
	global_load_dword v27, v[74:75], off
	global_load_dword v26, v[76:77], off
	global_load_dword v25, v[78:79], off
	global_load_dword v24, v[16:17], off
	global_load_dword v23, v[14:15], off
	global_load_dword v22, v[12:13], off
	global_load_dword v21, v[113:114], off
	global_load_dword v20, v[115:116], off
	global_load_dword v19, v[117:118], off
	global_load_dword v18, v[119:120], off
	global_load_dword v17, v[121:122], off
	global_load_dword v16, v[123:124], off
	global_load_dword v15, v[125:126], off
	global_load_dword v14, v[4:5], off
	global_load_dword v13, v[6:7], off
	global_load_dword v12, v[8:9], off
	global_load_dword v11, v[10:11], off
	global_load_dword v10, v[2:3], off
	global_load_dword v9, v[0:1], off
	global_load_dword v8, v[107:108], off
	global_load_dword v7, v[109:110], off
	v_cvt_f32_u32_e32 v0, s0
	v_rcp_iflag_f32_e32 v0, v0
	v_mul_f32_e32 v0, 0x4f7ffffe, v0
	v_cvt_u32_f32_e32 v0, v0
	v_readfirstlane_b32 s1, v0
	v_lshl_add_u32 v0, s6, 6, v127
	s_mul_i32 s8, s8, s1
	s_mul_hi_u32 s8, s1, s8
	s_add_i32 s1, s1, s8
	s_xor_b32 s8, s13, s12
	s_mul_hi_u32 s1, s9, s1
	s_ashr_i32 s8, s8, 31
	s_mul_i32 s10, s1, s0
	s_mov_b32 s12, 0
	s_sub_i32 s9, s9, s10
	s_add_i32 s10, s1, 1
	s_sub_i32 s11, s9, s0
	s_cmp_ge_u32 s9, s0
	s_cselect_b32 s1, s10, s1
	s_cselect_b32 s9, s11, s9
	s_add_i32 s10, s1, 1
	s_cmp_ge_u32 s9, s0
	s_cselect_b32 s0, s10, s1
	s_add_i32 s1, s7, 1
	s_xor_b32 s0, s0, s8
	s_sub_i32 s0, s0, s8
	s_mul_i32 s0, s0, s14
	v_mad_u64_u32 v[2:3], null, s0, s7, v[0:1]
	v_mad_u64_u32 v[4:5], null, s0, s1, v[0:1]
	s_mov_b32 s1, exec_lo
	v_cmpx_lt_i32_e64 v2, v4
	s_cbranch_execz .LBB0_4
; %bb.1:
	s_clause 0x1
	s_load_dword s18, s[4:5], 0x10
	s_load_dwordx8 s[4:11], s[4:5], 0x18
	v_ashrrev_i32_e32 v3, 31, v2
	v_lshlrev_b32_e32 v0, 2, v127
	s_ashr_i32 s15, s14, 31
	s_lshl_b64 s[16:17], s[14:15], 2
	v_lshlrev_b64 v[5:6], 2, v[2:3]
	v_add_nc_u32_e32 v44, 0x100, v0
	v_add_nc_u32_e32 v45, 0x200, v0
	v_mov_b32_e32 v3, 0
.LBB0_2:                                ; =>This Inner Loop Header: Depth=1
	s_waitcnt lgkmcnt(0)
	v_add_co_u32 v46, vcc_lo, s4, v5
	v_add_co_ci_u32_e64 v47, null, s5, v6, vcc_lo
	v_add_co_u32 v48, vcc_lo, s8, v5
	v_add_co_ci_u32_e64 v49, null, s9, v6, vcc_lo
	;; [unrolled: 2-line block ×3, first 2 shown]
	s_waitcnt vmcnt(0)
	s_waitcnt_vscnt null, 0x0
	s_barrier
	buffer_gl0_inv
	global_load_dword v1, v[46:47], off
	global_load_dword v48, v[48:49], off
	;; [unrolled: 1-line block ×3, first 2 shown]
	v_add_co_u32 v46, vcc_lo, s6, v5
	v_add_co_ci_u32_e64 v47, null, s7, v6, vcc_lo
	v_add_nc_u32_e32 v2, s14, v2
	s_waitcnt vmcnt(2)
	ds_write_b32 v0, v1
	s_waitcnt vmcnt(1)
	ds_write_b32 v44, v48
	;; [unrolled: 2-line block ×3, first 2 shown]
	s_waitcnt lgkmcnt(0)
	s_barrier
	buffer_gl0_inv
	global_load_dword v46, v[46:47], off
	ds_read_b128 v[47:50], v3 offset:512
	ds_read_b128 v[51:54], v3
	ds_read_b128 v[55:58], v3 offset:256
	ds_read_b128 v[59:62], v3 offset:528
	;; [unrolled: 1-line block ×4, first 2 shown]
	v_cmp_ge_i32_e64 s0, v2, v4
	s_or_b32 s12, s0, s12
	s_waitcnt lgkmcnt(5)
	v_mul_f32_e32 v106, v106, v47
	v_mul_f32_e32 v105, v105, v48
	;; [unrolled: 1-line block ×4, first 2 shown]
	s_waitcnt lgkmcnt(2)
	v_mul_f32_e32 v102, v102, v59
	v_mul_f32_e32 v101, v101, v60
	;; [unrolled: 1-line block ×4, first 2 shown]
	s_waitcnt vmcnt(0)
	v_fmac_f32_e32 v106, v46, v51
	v_fmac_f32_e32 v105, v46, v52
	;; [unrolled: 1-line block ×4, first 2 shown]
	ds_read_b128 v[48:51], v3 offset:544
	v_fma_f32 v47, v106, v55, 0
	ds_read_b128 v[52:55], v3 offset:32
	s_waitcnt lgkmcnt(3)
	v_fmac_f32_e32 v102, v46, v63
	ds_read_b128 v[60:63], v3 offset:560
	v_fmac_f32_e32 v101, v46, v64
	v_fmac_f32_e32 v47, v105, v56
	;; [unrolled: 1-line block ×6, first 2 shown]
	ds_read_b128 v[56:59], v3 offset:288
	s_waitcnt lgkmcnt(3)
	v_mul_f32_e32 v98, v98, v48
	v_fmac_f32_e32 v47, v102, v67
	ds_read_b128 v[64:67], v3 offset:48
	v_mul_f32_e32 v97, v97, v49
	v_mul_f32_e32 v96, v96, v50
	;; [unrolled: 1-line block ×3, first 2 shown]
	ds_read_b128 v[48:51], v3 offset:576
	s_waitcnt lgkmcnt(3)
	v_mul_f32_e32 v94, v94, v60
	v_mul_f32_e32 v93, v93, v61
	;; [unrolled: 1-line block ×4, first 2 shown]
	ds_read_b128 v[60:63], v3 offset:592
	v_fmac_f32_e32 v98, v46, v52
	v_fmac_f32_e32 v97, v46, v53
	;; [unrolled: 1-line block ×4, first 2 shown]
	ds_read_b128 v[52:55], v3 offset:64
	v_fmac_f32_e32 v47, v101, v68
	s_waitcnt lgkmcnt(3)
	v_fmac_f32_e32 v94, v46, v64
	v_fmac_f32_e32 v93, v46, v65
	v_fmac_f32_e32 v92, v46, v66
	v_fmac_f32_e32 v91, v46, v67
	ds_read_b128 v[64:67], v3 offset:80
	s_waitcnt lgkmcnt(3)
	v_mul_f32_e32 v90, v90, v48
	v_mul_f32_e32 v89, v89, v49
	;; [unrolled: 1-line block ×4, first 2 shown]
	ds_read_b128 v[48:51], v3 offset:608
	s_waitcnt lgkmcnt(3)
	v_mul_f32_e32 v86, v86, v60
	v_mul_f32_e32 v85, v85, v61
	;; [unrolled: 1-line block ×4, first 2 shown]
	ds_read_b128 v[60:63], v3 offset:624
	s_waitcnt lgkmcnt(3)
	v_fmac_f32_e32 v90, v46, v52
	v_fmac_f32_e32 v89, v46, v53
	;; [unrolled: 1-line block ×4, first 2 shown]
	ds_read_b128 v[52:55], v3 offset:96
	v_fmac_f32_e32 v47, v100, v69
	s_waitcnt lgkmcnt(3)
	v_fmac_f32_e32 v86, v46, v64
	v_fmac_f32_e32 v85, v46, v65
	;; [unrolled: 1-line block ×4, first 2 shown]
	ds_read_b128 v[64:67], v3 offset:112
	s_waitcnt lgkmcnt(3)
	v_mul_f32_e32 v82, v82, v48
	v_mul_f32_e32 v81, v81, v49
	;; [unrolled: 1-line block ×4, first 2 shown]
	ds_read_b128 v[48:51], v3 offset:640
	s_waitcnt lgkmcnt(3)
	v_mul_f32_e32 v42, v42, v60
	v_mul_f32_e32 v41, v41, v61
	;; [unrolled: 1-line block ×4, first 2 shown]
	ds_read_b128 v[60:63], v3 offset:656
	s_waitcnt lgkmcnt(3)
	v_fmac_f32_e32 v82, v46, v52
	v_fmac_f32_e32 v81, v46, v53
	v_fmac_f32_e32 v80, v46, v54
	v_fmac_f32_e32 v43, v46, v55
	ds_read_b128 v[52:55], v3 offset:128
	v_fmac_f32_e32 v47, v99, v70
	ds_read_b128 v[68:71], v3 offset:304
	s_waitcnt lgkmcnt(4)
	v_fmac_f32_e32 v42, v46, v64
	v_fmac_f32_e32 v41, v46, v65
	v_fmac_f32_e32 v40, v46, v66
	v_fmac_f32_e32 v39, v46, v67
	ds_read_b128 v[64:67], v3 offset:144
	s_waitcnt lgkmcnt(4)
	v_mul_f32_e32 v38, v38, v48
	v_mul_f32_e32 v37, v37, v49
	v_mul_f32_e32 v36, v36, v50
	v_mul_f32_e32 v35, v35, v51
	ds_read_b128 v[48:51], v3 offset:672
	s_waitcnt lgkmcnt(4)
	v_mul_f32_e32 v34, v34, v60
	v_mul_f32_e32 v33, v33, v61
	v_mul_f32_e32 v32, v32, v62
	v_mul_f32_e32 v31, v31, v63
	ds_read_b128 v[60:63], v3 offset:688
	s_waitcnt lgkmcnt(4)
	v_fmac_f32_e32 v38, v46, v52
	v_fmac_f32_e32 v37, v46, v53
	v_fmac_f32_e32 v36, v46, v54
	v_fmac_f32_e32 v35, v46, v55
	ds_read_b128 v[52:55], v3 offset:160
	s_waitcnt lgkmcnt(3)
	v_fmac_f32_e32 v34, v46, v64
	v_fmac_f32_e32 v33, v46, v65
	v_fmac_f32_e32 v32, v46, v66
	v_fmac_f32_e32 v31, v46, v67
	ds_read_b128 v[64:67], v3 offset:176
	s_waitcnt lgkmcnt(3)
	v_mul_f32_e32 v30, v30, v48
	v_mul_f32_e32 v29, v29, v49
	v_mul_f32_e32 v28, v28, v50
	v_mul_f32_e32 v27, v27, v51
	ds_read_b128 v[48:51], v3 offset:704
	s_waitcnt lgkmcnt(3)
	v_mul_f32_e32 v26, v26, v60
	v_mul_f32_e32 v25, v25, v61
	v_mul_f32_e32 v24, v24, v62
	v_mul_f32_e32 v23, v23, v63
	ds_read_b128 v[60:63], v3 offset:720
	s_waitcnt lgkmcnt(3)
	v_fmac_f32_e32 v30, v46, v52
	v_fmac_f32_e32 v29, v46, v53
	v_fmac_f32_e32 v28, v46, v54
	;; [unrolled: 24-line block ×3, first 2 shown]
	v_fmac_f32_e32 v19, v46, v55
	ds_read_b128 v[52:55], v3 offset:224
	s_waitcnt lgkmcnt(3)
	v_fmac_f32_e32 v18, v46, v64
	v_fmac_f32_e32 v17, v46, v65
	v_fmac_f32_e32 v16, v46, v66
	v_fmac_f32_e32 v15, v46, v67
	ds_read_b128 v[64:67], v3 offset:240
	v_fmac_f32_e32 v47, v98, v56
	v_fmac_f32_e32 v47, v97, v57
	s_waitcnt lgkmcnt(2)
	v_mul_f32_e32 v10, v10, v60
	v_mul_f32_e32 v9, v9, v61
	;; [unrolled: 1-line block ×4, first 2 shown]
	v_fmac_f32_e32 v47, v96, v58
	v_fmac_f32_e32 v47, v95, v59
	ds_read_b128 v[56:59], v3 offset:320
	s_waitcnt lgkmcnt(1)
	v_fmac_f32_e32 v10, v46, v64
	v_fmac_f32_e32 v47, v94, v68
	;; [unrolled: 1-line block ×8, first 2 shown]
	ds_read_b128 v[68:71], v3 offset:336
	s_waitcnt lgkmcnt(1)
	v_fmac_f32_e32 v47, v90, v56
	v_fmac_f32_e32 v47, v89, v57
	v_fmac_f32_e32 v47, v88, v58
	v_fmac_f32_e32 v47, v87, v59
	ds_read_b128 v[56:59], v3 offset:352
	s_waitcnt lgkmcnt(1)
	v_fmac_f32_e32 v47, v86, v68
	v_fmac_f32_e32 v47, v85, v69
	v_fmac_f32_e32 v47, v84, v70
	v_fmac_f32_e32 v47, v83, v71
	;; [unrolled: 6-line block ×10, first 2 shown]
	ds_read_b128 v[68:71], v3 offset:496
	v_mul_f32_e32 v14, v14, v48
	v_mul_f32_e32 v13, v13, v49
	;; [unrolled: 1-line block ×4, first 2 shown]
	v_add_co_u32 v48, vcc_lo, s2, v5
	v_fmac_f32_e32 v14, v46, v52
	v_fmac_f32_e32 v13, v46, v53
	;; [unrolled: 1-line block ×4, first 2 shown]
	v_add_co_ci_u32_e64 v49, null, s3, v6, vcc_lo
	s_waitcnt lgkmcnt(1)
	v_fmac_f32_e32 v47, v14, v56
	v_add_co_u32 v5, vcc_lo, v5, s16
	v_add_co_ci_u32_e64 v6, null, s17, v6, vcc_lo
	v_fmac_f32_e32 v47, v13, v57
	v_fmac_f32_e32 v47, v12, v58
	;; [unrolled: 1-line block ×3, first 2 shown]
	s_waitcnt lgkmcnt(0)
	v_fmac_f32_e32 v47, v10, v68
	v_fmac_f32_e32 v47, v9, v69
	;; [unrolled: 1-line block ×4, first 2 shown]
	v_mul_f32_e32 v1, s18, v47
	global_store_dword v[48:49], v1, off
	s_andn2_b32 exec_lo, exec_lo, s12
	s_cbranch_execnz .LBB0_2
; %bb.3:
	s_or_b32 exec_lo, exec_lo, s12
.LBB0_4:
	s_or_b32 exec_lo, exec_lo, s1
	v_mad_u64_u32 v[0:1], null, s14, s13, v[111:112]
	v_add_nc_u32_e32 v2, 0x200, v0
	v_ashrrev_i32_e32 v1, 31, v0
	v_add_nc_u32_e32 v4, 0x240, v0
	v_add_nc_u32_e32 v46, 0x280, v0
	v_ashrrev_i32_e32 v3, 31, v2
	v_lshlrev_b64 v[44:45], 2, v[0:1]
	v_ashrrev_i32_e32 v5, 31, v4
	v_add_nc_u32_e32 v1, 0x2c0, v0
	v_ashrrev_i32_e32 v47, 31, v46
	v_lshlrev_b64 v[2:3], 2, v[2:3]
	v_add_co_u32 v44, vcc_lo, s2, v44
	v_add_co_ci_u32_e64 v45, null, s3, v45, vcc_lo
	v_lshlrev_b64 v[4:5], 2, v[4:5]
	v_add_co_u32 v2, vcc_lo, s2, v2
	v_add_co_ci_u32_e64 v3, null, s3, v3, vcc_lo
	global_store_dword v[44:45], v106, off
	global_store_dword v[44:45], v105, off offset:256
	global_store_dword v[44:45], v104, off offset:512
	global_store_dword v[44:45], v103, off offset:768
	global_store_dword v[44:45], v102, off offset:1024
	global_store_dword v[44:45], v101, off offset:1280
	global_store_dword v[44:45], v100, off offset:1536
	global_store_dword v[44:45], v99, off offset:1792
	global_store_dword v[2:3], v98, off
	v_ashrrev_i32_e32 v2, 31, v1
	v_add_co_u32 v3, vcc_lo, s2, v4
	v_lshlrev_b64 v[44:45], 2, v[46:47]
	v_add_co_ci_u32_e64 v4, null, s3, v5, vcc_lo
	v_add_nc_u32_e32 v5, 0x300, v0
	v_lshlrev_b64 v[1:2], 2, v[1:2]
	v_add_nc_u32_e32 v46, 0x340, v0
	v_add_co_u32 v44, vcc_lo, s2, v44
	v_ashrrev_i32_e32 v6, 31, v5
	v_add_co_ci_u32_e64 v45, null, s3, v45, vcc_lo
	v_add_co_u32 v1, vcc_lo, s2, v1
	v_ashrrev_i32_e32 v47, 31, v46
	v_add_co_ci_u32_e64 v2, null, s3, v2, vcc_lo
	global_store_dword v[3:4], v97, off
	v_lshlrev_b64 v[3:4], 2, v[5:6]
	v_add_nc_u32_e32 v5, 0x380, v0
	s_waitcnt vmcnt(53)
	global_store_dword v[44:45], v96, off
	s_waitcnt vmcnt(52)
	global_store_dword v[1:2], v95, off
	v_lshlrev_b64 v[1:2], 2, v[46:47]
	v_add_nc_u32_e32 v44, 0x3c0, v0
	v_add_nc_u32_e32 v46, 0x400, v0
	v_ashrrev_i32_e32 v6, 31, v5
	v_add_co_u32 v3, vcc_lo, s2, v3
	v_add_co_ci_u32_e64 v4, null, s3, v4, vcc_lo
	v_add_co_u32 v1, vcc_lo, s2, v1
	v_lshlrev_b64 v[5:6], 2, v[5:6]
	v_ashrrev_i32_e32 v45, 31, v44
	v_add_co_ci_u32_e64 v2, null, s3, v2, vcc_lo
	v_ashrrev_i32_e32 v47, 31, v46
	s_waitcnt vmcnt(51)
	global_store_dword v[3:4], v94, off
	s_waitcnt vmcnt(50)
	global_store_dword v[1:2], v93, off
	v_lshlrev_b64 v[1:2], 2, v[44:45]
	v_add_co_u32 v3, vcc_lo, s2, v5
	v_add_co_ci_u32_e64 v4, null, s3, v6, vcc_lo
	v_lshlrev_b64 v[5:6], 2, v[46:47]
	v_add_nc_u32_e32 v44, 0x440, v0
	v_add_co_u32 v1, vcc_lo, s2, v1
	v_add_co_ci_u32_e64 v2, null, s3, v2, vcc_lo
	v_add_nc_u32_e32 v46, 0x480, v0
	v_add_co_u32 v5, vcc_lo, s2, v5
	v_add_co_ci_u32_e64 v6, null, s3, v6, vcc_lo
	v_ashrrev_i32_e32 v45, 31, v44
	v_ashrrev_i32_e32 v47, 31, v46
	s_waitcnt vmcnt(49)
	global_store_dword v[3:4], v92, off
	s_waitcnt vmcnt(48)
	global_store_dword v[1:2], v91, off
	s_waitcnt vmcnt(47)
	global_store_dword v[5:6], v90, off
	v_add_nc_u32_e32 v5, 0x4c0, v0
	v_lshlrev_b64 v[3:4], 2, v[44:45]
	v_lshlrev_b64 v[1:2], 2, v[46:47]
	v_add_nc_u32_e32 v44, 0x500, v0
	v_add_nc_u32_e32 v46, 0x540, v0
	v_ashrrev_i32_e32 v6, 31, v5
	v_add_co_u32 v3, vcc_lo, s2, v3
	v_add_co_ci_u32_e64 v4, null, s3, v4, vcc_lo
	v_add_co_u32 v1, vcc_lo, s2, v1
	v_lshlrev_b64 v[5:6], 2, v[5:6]
	v_ashrrev_i32_e32 v45, 31, v44
	v_add_co_ci_u32_e64 v2, null, s3, v2, vcc_lo
	v_ashrrev_i32_e32 v47, 31, v46
	s_waitcnt vmcnt(46)
	global_store_dword v[3:4], v89, off
	s_waitcnt vmcnt(45)
	global_store_dword v[1:2], v88, off
	v_lshlrev_b64 v[1:2], 2, v[44:45]
	v_add_co_u32 v3, vcc_lo, s2, v5
	v_add_co_ci_u32_e64 v4, null, s3, v6, vcc_lo
	v_lshlrev_b64 v[5:6], 2, v[46:47]
	v_add_nc_u32_e32 v44, 0x580, v0
	v_add_co_u32 v1, vcc_lo, s2, v1
	v_add_co_ci_u32_e64 v2, null, s3, v2, vcc_lo
	v_add_nc_u32_e32 v46, 0x5c0, v0
	v_add_co_u32 v5, vcc_lo, s2, v5
	v_add_co_ci_u32_e64 v6, null, s3, v6, vcc_lo
	v_ashrrev_i32_e32 v45, 31, v44
	v_ashrrev_i32_e32 v47, 31, v46
	s_waitcnt vmcnt(44)
	global_store_dword v[3:4], v87, off
	s_waitcnt vmcnt(43)
	global_store_dword v[1:2], v86, off
	s_waitcnt vmcnt(42)
	global_store_dword v[5:6], v85, off
	v_add_nc_u32_e32 v5, 0x600, v0
	v_lshlrev_b64 v[3:4], 2, v[44:45]
	;; [unrolled: 35-line block ×8, first 2 shown]
	v_lshlrev_b64 v[1:2], 2, v[24:25]
	v_add_nc_u32_e32 v19, 0xdc0, v0
	v_add_nc_u32_e32 v21, 0xe00, v0
	v_ashrrev_i32_e32 v6, 31, v5
	v_add_co_u32 v3, vcc_lo, s2, v3
	v_add_co_ci_u32_e64 v4, null, s3, v4, vcc_lo
	v_add_co_u32 v1, vcc_lo, s2, v1
	v_lshlrev_b64 v[5:6], 2, v[5:6]
	v_ashrrev_i32_e32 v20, 31, v19
	v_add_co_ci_u32_e64 v2, null, s3, v2, vcc_lo
	v_ashrrev_i32_e32 v22, 31, v21
	s_waitcnt vmcnt(11)
	global_store_dword v[3:4], v18, off
	s_waitcnt vmcnt(10)
	global_store_dword v[1:2], v17, off
	v_lshlrev_b64 v[1:2], 2, v[19:20]
	v_add_co_u32 v3, vcc_lo, s2, v5
	v_add_co_ci_u32_e64 v4, null, s3, v6, vcc_lo
	v_lshlrev_b64 v[5:6], 2, v[21:22]
	v_add_nc_u32_e32 v17, 0xe40, v0
	v_add_nc_u32_e32 v19, 0xe80, v0
	v_add_co_u32 v1, vcc_lo, s2, v1
	v_add_co_ci_u32_e64 v2, null, s3, v2, vcc_lo
	v_ashrrev_i32_e32 v18, 31, v17
	v_add_co_u32 v5, vcc_lo, s2, v5
	v_ashrrev_i32_e32 v20, 31, v19
	v_add_co_ci_u32_e64 v6, null, s3, v6, vcc_lo
	s_waitcnt vmcnt(9)
	global_store_dword v[3:4], v16, off
	v_lshlrev_b64 v[3:4], 2, v[17:18]
	s_waitcnt vmcnt(8)
	global_store_dword v[1:2], v15, off
	s_waitcnt vmcnt(7)
	global_store_dword v[5:6], v14, off
	v_lshlrev_b64 v[1:2], 2, v[19:20]
	v_add_nc_u32_e32 v5, 0xec0, v0
	v_add_nc_u32_e32 v14, 0xf00, v0
	;; [unrolled: 1-line block ×3, first 2 shown]
	v_add_co_u32 v3, vcc_lo, s2, v3
	v_add_co_ci_u32_e64 v4, null, s3, v4, vcc_lo
	v_ashrrev_i32_e32 v6, 31, v5
	v_add_co_u32 v1, vcc_lo, s2, v1
	v_add_co_ci_u32_e64 v2, null, s3, v2, vcc_lo
	v_ashrrev_i32_e32 v15, 31, v14
	s_waitcnt vmcnt(6)
	global_store_dword v[3:4], v13, off
	v_lshlrev_b64 v[3:4], 2, v[5:6]
	v_add_nc_u32_e32 v5, 0xf80, v0
	s_waitcnt vmcnt(5)
	global_store_dword v[1:2], v12, off
	v_lshlrev_b64 v[1:2], 2, v[14:15]
	v_add_nc_u32_e32 v0, 0xfc0, v0
	v_ashrrev_i32_e32 v17, 31, v16
	v_add_co_u32 v3, vcc_lo, s2, v3
	v_ashrrev_i32_e32 v6, 31, v5
	v_add_co_ci_u32_e64 v4, null, s3, v4, vcc_lo
	v_add_co_u32 v14, vcc_lo, s2, v1
	v_ashrrev_i32_e32 v1, 31, v0
	v_lshlrev_b64 v[12:13], 2, v[16:17]
	v_lshlrev_b64 v[5:6], 2, v[5:6]
	v_add_co_ci_u32_e64 v15, null, s3, v2, vcc_lo
	v_lshlrev_b64 v[0:1], 2, v[0:1]
	v_add_co_u32 v12, vcc_lo, s2, v12
	v_add_co_ci_u32_e64 v13, null, s3, v13, vcc_lo
	v_add_co_u32 v5, vcc_lo, s2, v5
	v_add_co_ci_u32_e64 v6, null, s3, v6, vcc_lo
	;; [unrolled: 2-line block ×3, first 2 shown]
	s_waitcnt vmcnt(4)
	global_store_dword v[3:4], v11, off
	s_waitcnt vmcnt(3)
	global_store_dword v[14:15], v10, off
	s_waitcnt vmcnt(2)
	global_store_dword v[12:13], v9, off
	s_waitcnt vmcnt(1)
	global_store_dword v[5:6], v8, off
	s_waitcnt vmcnt(0)
	global_store_dword v[0:1], v7, off
	s_endpgm
	.section	.rodata,"a",@progbits
	.p2align	6, 0x0
	.amdhsa_kernel _ZL21gated_linear_attn_f32ILi64EEviiiifPKfS1_S1_S1_S1_Pf
		.amdhsa_group_segment_fixed_size 768
		.amdhsa_private_segment_fixed_size 28
		.amdhsa_kernarg_size 72
		.amdhsa_user_sgpr_count 6
		.amdhsa_user_sgpr_private_segment_buffer 1
		.amdhsa_user_sgpr_dispatch_ptr 0
		.amdhsa_user_sgpr_queue_ptr 0
		.amdhsa_user_sgpr_kernarg_segment_ptr 1
		.amdhsa_user_sgpr_dispatch_id 0
		.amdhsa_user_sgpr_flat_scratch_init 0
		.amdhsa_user_sgpr_private_segment_size 0
		.amdhsa_wavefront_size32 1
		.amdhsa_uses_dynamic_stack 0
		.amdhsa_system_sgpr_private_segment_wavefront_offset 1
		.amdhsa_system_sgpr_workgroup_id_x 1
		.amdhsa_system_sgpr_workgroup_id_y 0
		.amdhsa_system_sgpr_workgroup_id_z 0
		.amdhsa_system_sgpr_workgroup_info 0
		.amdhsa_system_vgpr_workitem_id 0
		.amdhsa_next_free_vgpr 128
		.amdhsa_next_free_sgpr 24
		.amdhsa_reserve_vcc 1
		.amdhsa_reserve_flat_scratch 0
		.amdhsa_float_round_mode_32 0
		.amdhsa_float_round_mode_16_64 0
		.amdhsa_float_denorm_mode_32 3
		.amdhsa_float_denorm_mode_16_64 3
		.amdhsa_dx10_clamp 1
		.amdhsa_ieee_mode 1
		.amdhsa_fp16_overflow 0
		.amdhsa_workgroup_processor_mode 1
		.amdhsa_memory_ordered 1
		.amdhsa_forward_progress 1
		.amdhsa_shared_vgpr_count 0
		.amdhsa_exception_fp_ieee_invalid_op 0
		.amdhsa_exception_fp_denorm_src 0
		.amdhsa_exception_fp_ieee_div_zero 0
		.amdhsa_exception_fp_ieee_overflow 0
		.amdhsa_exception_fp_ieee_underflow 0
		.amdhsa_exception_fp_ieee_inexact 0
		.amdhsa_exception_int_div_zero 0
	.end_amdhsa_kernel
	.section	.text._ZL21gated_linear_attn_f32ILi64EEviiiifPKfS1_S1_S1_S1_Pf,"axG",@progbits,_ZL21gated_linear_attn_f32ILi64EEviiiifPKfS1_S1_S1_S1_Pf,comdat
.Lfunc_end0:
	.size	_ZL21gated_linear_attn_f32ILi64EEviiiifPKfS1_S1_S1_S1_Pf, .Lfunc_end0-_ZL21gated_linear_attn_f32ILi64EEviiiifPKfS1_S1_S1_S1_Pf
                                        ; -- End function
	.set _ZL21gated_linear_attn_f32ILi64EEviiiifPKfS1_S1_S1_S1_Pf.num_vgpr, 128
	.set _ZL21gated_linear_attn_f32ILi64EEviiiifPKfS1_S1_S1_S1_Pf.num_agpr, 0
	.set _ZL21gated_linear_attn_f32ILi64EEviiiifPKfS1_S1_S1_S1_Pf.numbered_sgpr, 24
	.set _ZL21gated_linear_attn_f32ILi64EEviiiifPKfS1_S1_S1_S1_Pf.num_named_barrier, 0
	.set _ZL21gated_linear_attn_f32ILi64EEviiiifPKfS1_S1_S1_S1_Pf.private_seg_size, 28
	.set _ZL21gated_linear_attn_f32ILi64EEviiiifPKfS1_S1_S1_S1_Pf.uses_vcc, 1
	.set _ZL21gated_linear_attn_f32ILi64EEviiiifPKfS1_S1_S1_S1_Pf.uses_flat_scratch, 0
	.set _ZL21gated_linear_attn_f32ILi64EEviiiifPKfS1_S1_S1_S1_Pf.has_dyn_sized_stack, 0
	.set _ZL21gated_linear_attn_f32ILi64EEviiiifPKfS1_S1_S1_S1_Pf.has_recursion, 0
	.set _ZL21gated_linear_attn_f32ILi64EEviiiifPKfS1_S1_S1_S1_Pf.has_indirect_call, 0
	.section	.AMDGPU.csdata,"",@progbits
; Kernel info:
; codeLenInByte = 7440
; TotalNumSgprs: 26
; NumVgprs: 128
; ScratchSize: 28
; MemoryBound: 0
; FloatMode: 240
; IeeeMode: 1
; LDSByteSize: 768 bytes/workgroup (compile time only)
; SGPRBlocks: 0
; VGPRBlocks: 15
; NumSGPRsForWavesPerEU: 26
; NumVGPRsForWavesPerEU: 128
; Occupancy: 8
; WaveLimiterHint : 1
; COMPUTE_PGM_RSRC2:SCRATCH_EN: 1
; COMPUTE_PGM_RSRC2:USER_SGPR: 6
; COMPUTE_PGM_RSRC2:TRAP_HANDLER: 0
; COMPUTE_PGM_RSRC2:TGID_X_EN: 1
; COMPUTE_PGM_RSRC2:TGID_Y_EN: 0
; COMPUTE_PGM_RSRC2:TGID_Z_EN: 0
; COMPUTE_PGM_RSRC2:TIDIG_COMP_CNT: 0
	.section	.text._ZL21gated_linear_attn_f32ILi128EEviiiifPKfS1_S1_S1_S1_Pf,"axG",@progbits,_ZL21gated_linear_attn_f32ILi128EEviiiifPKfS1_S1_S1_S1_Pf,comdat
	.globl	_ZL21gated_linear_attn_f32ILi128EEviiiifPKfS1_S1_S1_S1_Pf ; -- Begin function _ZL21gated_linear_attn_f32ILi128EEviiiifPKfS1_S1_S1_S1_Pf
	.p2align	8
	.type	_ZL21gated_linear_attn_f32ILi128EEviiiifPKfS1_S1_S1_S1_Pf,@function
_ZL21gated_linear_attn_f32ILi128EEviiiifPKfS1_S1_S1_S1_Pf: ; @_ZL21gated_linear_attn_f32ILi128EEviiiifPKfS1_S1_S1_S1_Pf
; %bb.0:
	s_mov_b64 s[22:23], s[2:3]
	s_mov_b64 s[20:21], s[0:1]
	s_clause 0x1
	s_load_dwordx4 s[12:15], s[4:5], 0x0
	s_load_dwordx4 s[0:3], s[4:5], 0x38
	s_add_u32 s20, s20, s7
	s_addc_u32 s21, s21, 0
	s_abs_i32 s8, s6
	s_mov_b32 s18, 0
	s_waitcnt lgkmcnt(0)
	s_abs_i32 s9, s15
	s_xor_b32 s7, s6, s15
	v_cvt_f32_u32_e32 v1, s9
	s_sub_i32 s10, 0, s9
	s_ashr_i32 s7, s7, 31
	v_rcp_iflag_f32_e32 v1, v1
	v_mul_f32_e32 v1, 0x4f7ffffe, v1
	v_cvt_u32_f32_e32 v1, v1
	v_readfirstlane_b32 s11, v1
	s_mul_i32 s10, s10, s11
	s_mul_hi_u32 s10, s11, s10
	s_add_i32 s11, s11, s10
	s_mul_hi_u32 s10, s8, s11
	s_mul_i32 s11, s10, s9
	s_sub_i32 s8, s8, s11
	s_add_i32 s11, s10, 1
	s_sub_i32 s16, s8, s9
	s_cmp_ge_u32 s8, s9
	s_cselect_b32 s10, s11, s10
	s_cselect_b32 s8, s16, s8
	s_add_i32 s11, s10, 1
	s_cmp_ge_u32 s8, s9
	s_cselect_b32 s8, s11, s10
	s_xor_b32 s8, s8, s7
	s_sub_i32 s7, s8, s7
	s_mul_i32 s8, s7, s15
	s_sub_i32 s6, s6, s8
	s_mul_i32 s8, s14, s7
	s_lshl_b32 s9, s6, 14
	s_lshl_b32 s8, s8, 7
	v_add3_u32 v5, s9, s8, v0
	s_abs_i32 s8, s12
	s_sub_i32 s9, 0, s8
	v_ashrrev_i32_e32 v6, 31, v5
	v_lshlrev_b64 v[2:3], 2, v[5:6]
	v_add_co_u32 v2, vcc_lo, s0, v2
	v_add_co_ci_u32_e64 v3, null, s1, v3, vcc_lo
	s_clause 0x3
	global_load_dword v55, v[2:3], off
	global_load_dword v54, v[2:3], off offset:512
	global_load_dword v53, v[2:3], off offset:1024
	;; [unrolled: 1-line block ×3, first 2 shown]
	v_add_nc_u32_e32 v2, 0x200, v5
	v_ashrrev_i32_e32 v3, 31, v2
	v_lshlrev_b64 v[2:3], 2, v[2:3]
	v_add_co_u32 v2, vcc_lo, s0, v2
	v_add_co_ci_u32_e64 v3, null, s1, v3, vcc_lo
	global_load_dword v57, v[2:3], off
	v_add_nc_u32_e32 v2, 0x280, v5
	v_ashrrev_i32_e32 v3, 31, v2
	v_lshlrev_b64 v[2:3], 2, v[2:3]
	v_add_co_u32 v2, vcc_lo, s0, v2
	v_add_co_ci_u32_e64 v3, null, s1, v3, vcc_lo
	global_load_dword v59, v[2:3], off
	;; [unrolled: 6-line block ×45, first 2 shown]
	v_add_nc_u32_e32 v2, 0x1880, v5
	v_ashrrev_i32_e32 v3, 31, v2
	s_waitcnt vmcnt(13)
	buffer_store_dword v1, off, s[20:23], 0 offset:16 ; 4-byte Folded Spill
	v_lshlrev_b64 v[2:3], 2, v[2:3]
	v_add_co_u32 v2, vcc_lo, s0, v2
	v_add_co_ci_u32_e64 v3, null, s1, v3, vcc_lo
	global_load_dword v115, v[2:3], off
	v_add_nc_u32_e32 v2, 0x1900, v5
	v_ashrrev_i32_e32 v3, 31, v2
	v_lshlrev_b64 v[2:3], 2, v[2:3]
	v_add_co_u32 v2, vcc_lo, s0, v2
	v_add_co_ci_u32_e64 v3, null, s1, v3, vcc_lo
	global_load_dword v112, v[2:3], off
	v_add_nc_u32_e32 v2, 0x1980, v5
	v_ashrrev_i32_e32 v3, 31, v2
	;; [unrolled: 6-line block ×70, first 2 shown]
	v_lshlrev_b64 v[2:3], 2, v[2:3]
	v_add_co_u32 v2, vcc_lo, s0, v2
	v_add_co_ci_u32_e64 v3, null, s1, v3, vcc_lo
	s_waitcnt vmcnt(0)
	buffer_store_dword v1, off, s[20:23], 0 offset:76 ; 4-byte Folded Spill
	global_load_dword v1, v[2:3], off
	v_add_nc_u32_e32 v2, 0x3c00, v5
	v_ashrrev_i32_e32 v3, 31, v2
	v_lshlrev_b64 v[2:3], 2, v[2:3]
	v_add_co_u32 v2, vcc_lo, s0, v2
	v_add_co_ci_u32_e64 v3, null, s1, v3, vcc_lo
	s_waitcnt vmcnt(0)
	buffer_store_dword v1, off, s[20:23], 0 offset:72 ; 4-byte Folded Spill
	global_load_dword v1, v[2:3], off
	v_add_nc_u32_e32 v2, 0x3c80, v5
	v_ashrrev_i32_e32 v3, 31, v2
	;; [unrolled: 8-line block ×3, first 2 shown]
	v_lshlrev_b64 v[2:3], 2, v[2:3]
	v_add_co_u32 v2, vcc_lo, s0, v2
	v_add_co_ci_u32_e64 v3, null, s1, v3, vcc_lo
	global_load_dword v24, v[2:3], off
	v_add_nc_u32_e32 v2, 0x3d80, v5
	v_ashrrev_i32_e32 v3, 31, v2
	v_lshlrev_b64 v[2:3], 2, v[2:3]
	v_add_co_u32 v2, vcc_lo, s0, v2
	v_add_co_ci_u32_e64 v3, null, s1, v3, vcc_lo
	global_load_dword v23, v[2:3], off
	v_add_nc_u32_e32 v2, 0x3e00, v5
	v_ashrrev_i32_e32 v3, 31, v2
	;; [unrolled: 6-line block ×4, first 2 shown]
	v_lshlrev_b64 v[2:3], 2, v[2:3]
	v_add_co_u32 v2, vcc_lo, s0, v2
	v_add_co_ci_u32_e64 v3, null, s1, v3, vcc_lo
	global_load_dword v6, v[2:3], off
	s_waitcnt vmcnt(5)
	buffer_store_dword v1, off, s[20:23], 0 offset:64 ; 4-byte Folded Spill
	v_mov_b32_e32 v1, v5
	buffer_store_dword v1, off, s[20:23], 0 offset:224 ; 4-byte Folded Spill
	buffer_store_dword v2, off, s[20:23], 0 offset:228 ; 4-byte Folded Spill
	v_add_nc_u32_e32 v2, 0x3f80, v5
	v_lshl_add_u32 v5, s6, 7, v0
	v_ashrrev_i32_e32 v3, 31, v2
	v_lshlrev_b64 v[2:3], 2, v[2:3]
	v_add_co_u32 v2, vcc_lo, s0, v2
	v_add_co_ci_u32_e64 v3, null, s1, v3, vcc_lo
	s_abs_i32 s1, s13
	s_xor_b32 s0, s13, s12
	global_load_dword v34, v[2:3], off
	v_cvt_f32_u32_e32 v2, s8
	s_ashr_i32 s0, s0, 31
	v_rcp_iflag_f32_e32 v2, v2
	v_mul_f32_e32 v2, 0x4f7ffffe, v2
	v_cvt_u32_f32_e32 v2, v2
	v_readfirstlane_b32 s10, v2
	s_mul_i32 s9, s9, s10
	s_mul_hi_u32 s9, s10, s9
	s_add_i32 s10, s10, s9
	s_mul_hi_u32 s9, s1, s10
	s_mul_i32 s10, s9, s8
	s_sub_i32 s1, s1, s10
	s_add_i32 s10, s9, 1
	s_sub_i32 s11, s1, s8
	s_cmp_ge_u32 s1, s8
	s_cselect_b32 s9, s10, s9
	s_cselect_b32 s1, s11, s1
	s_add_i32 s10, s9, 1
	s_cmp_ge_u32 s1, s8
	s_cselect_b32 s1, s10, s9
	s_xor_b32 s1, s1, s0
	s_sub_i32 s0, s1, s0
	s_mov_b32 s1, exec_lo
	s_mul_i32 s0, s0, s14
	s_waitcnt vmcnt(1)
	v_mad_u64_u32 v[1:2], null, s0, s7, v[5:6]
	s_add_i32 s7, s7, 1
	v_mad_u64_u32 v[2:3], null, s0, s7, v[5:6]
	v_cmpx_lt_i32_e64 v1, v2
	s_cbranch_execz .LBB1_4
; %bb.1:
	v_lshlrev_b32_e32 v0, 2, v0
	s_clause 0x1
	s_load_dword s12, s[4:5], 0x10
	s_load_dwordx8 s[4:11], s[4:5], 0x18
	s_ashr_i32 s15, s14, 31
	buffer_store_dword v0, off, s[20:23], 0 offset:220 ; 4-byte Folded Spill
	buffer_store_dword v2, off, s[20:23], 0 offset:212 ; 4-byte Folded Spill
	;; [unrolled: 1-line block ×3, first 2 shown]
	v_mov_b32_e32 v0, v1
	v_ashrrev_i32_e32 v2, 31, v1
	buffer_store_dword v6, off, s[20:23], 0 offset:80 ; 4-byte Folded Spill
	v_mov_b32_e32 v3, 0
	buffer_store_dword v0, off, s[20:23], 0 offset:204 ; 4-byte Folded Spill
	buffer_store_dword v1, off, s[20:23], 0 offset:208 ; 4-byte Folded Spill
	;; [unrolled: 1-line block ×15, first 2 shown]
	s_waitcnt vmcnt(0)
	buffer_store_dword v34, off, s[20:23], 0 offset:132 ; 4-byte Folded Spill
	buffer_store_dword v35, off, s[20:23], 0 offset:136 ; 4-byte Folded Spill
	;; [unrolled: 1-line block ×16, first 2 shown]
	v_mov_b32_e32 v12, v50
	buffer_store_dword v51, off, s[20:23], 0 offset:200 ; 4-byte Folded Spill
	buffer_store_dword v52, off, s[20:23], 0 offset:44 ; 4-byte Folded Spill
	;; [unrolled: 1-line block ×5, first 2 shown]
	v_mov_b32_e32 v55, v56
	buffer_store_dword v57, off, s[20:23], 0 offset:60 ; 4-byte Folded Spill
	v_mov_b32_e32 v127, v58
	buffer_store_dword v59, off, s[20:23], 0 offset:40 ; 4-byte Folded Spill
	;; [unrolled: 2-line block ×3, first 2 shown]
	v_mov_b32_e32 v61, v62
	v_mov_b32_e32 v62, v63
	v_mov_b32_e32 v63, v64
	v_mov_b32_e32 v64, v65
	v_mov_b32_e32 v65, v66
	v_mov_b32_e32 v66, v67
	v_mov_b32_e32 v67, v68
	v_mov_b32_e32 v68, v69
	v_mov_b32_e32 v69, v70
	v_mov_b32_e32 v70, v71
	v_mov_b32_e32 v71, v72
	v_mov_b32_e32 v72, v73
	v_mov_b32_e32 v73, v74
	v_mov_b32_e32 v74, v75
	v_mov_b32_e32 v75, v76
	v_mov_b32_e32 v76, v77
	v_mov_b32_e32 v77, v78
	v_mov_b32_e32 v78, v79
	v_mov_b32_e32 v79, v80
	v_mov_b32_e32 v80, v81
	v_mov_b32_e32 v81, v82
	v_mov_b32_e32 v82, v83
	v_mov_b32_e32 v83, v84
	v_mov_b32_e32 v84, v85
	v_mov_b32_e32 v85, v86
	v_mov_b32_e32 v86, v87
	v_mov_b32_e32 v87, v88
	v_mov_b32_e32 v88, v89
	v_mov_b32_e32 v89, v90
	v_mov_b32_e32 v90, v91
	v_mov_b32_e32 v91, v92
	v_mov_b32_e32 v92, v93
	v_mov_b32_e32 v93, v94
	v_mov_b32_e32 v94, v95
	v_mov_b32_e32 v95, v96
	v_mov_b32_e32 v96, v97
	v_mov_b32_e32 v97, v98
	v_mov_b32_e32 v98, v99
	v_mov_b32_e32 v99, v100
	v_mov_b32_e32 v100, v101
	v_mov_b32_e32 v101, v102
	v_mov_b32_e32 v102, v103
	v_mov_b32_e32 v103, v104
	v_mov_b32_e32 v104, v105
	v_mov_b32_e32 v105, v106
	v_mov_b32_e32 v106, v107
	v_mov_b32_e32 v107, v108
	v_mov_b32_e32 v108, v109
	v_mov_b32_e32 v109, v110
	v_mov_b32_e32 v110, v111
	v_mov_b32_e32 v111, v112
	v_mov_b32_e32 v112, v113
	v_mov_b32_e32 v113, v114
	v_mov_b32_e32 v114, v115
	v_mov_b32_e32 v115, v116
	v_mov_b32_e32 v116, v117
	v_mov_b32_e32 v117, v118
	v_mov_b32_e32 v118, v119
	v_mov_b32_e32 v119, v120
	v_mov_b32_e32 v120, v121
	v_mov_b32_e32 v121, v122
	v_mov_b32_e32 v122, v123
	v_mov_b32_e32 v123, v124
	v_mov_b32_e32 v124, v125
	v_mov_b32_e32 v125, v126
	v_mov_b32_e32 v126, v7
	buffer_store_dword v4, off, s[20:23], 0 offset:20 ; 4-byte Folded Spill
	buffer_store_dword v21, off, s[20:23], 0 offset:24 ; 4-byte Folded Spill
	;; [unrolled: 1-line block ×3, first 2 shown]
	v_mov_b32_e32 v7, v9
	v_mov_b32_e32 v57, v11
	;; [unrolled: 1-line block ×5, first 2 shown]
	s_lshl_b64 s[16:17], s[14:15], 2
	buffer_store_dword v19, off, s[20:23], 0 ; 4-byte Folded Spill
	buffer_store_dword v16, off, s[20:23], 0 offset:4 ; 4-byte Folded Spill
	buffer_store_dword v15, off, s[20:23], 0 offset:28 ; 4-byte Folded Spill
	buffer_store_dword v13, off, s[20:23], 0 offset:32 ; 4-byte Folded Spill
	buffer_store_dword v14, off, s[20:23], 0 offset:36 ; 4-byte Folded Spill
	v_lshlrev_b64 v[5:6], 2, v[1:2]
	v_mov_b32_e32 v2, v10
	v_mov_b32_e32 v10, v25
.LBB1_2:                                ; =>This Inner Loop Header: Depth=1
	s_waitcnt lgkmcnt(0)
	v_add_co_u32 v13, vcc_lo, s4, v5
	v_add_co_ci_u32_e64 v14, null, s5, v6, vcc_lo
	s_waitcnt_vscnt null, 0x0
	s_barrier
	s_waitcnt vmcnt(0)
	buffer_gl0_inv
	global_load_dword v0, v[13:14], off
	v_add_co_u32 v13, vcc_lo, s8, v5
	v_add_co_ci_u32_e64 v14, null, s9, v6, vcc_lo
	buffer_load_dword v1, off, s[20:23], 0 offset:220 ; 4-byte Folded Reload
	v_mov_b32_e32 v60, v18
	v_mov_b32_e32 v54, v12
	global_load_dword v15, v[13:14], off
	v_add_co_u32 v13, vcc_lo, s10, v5
	v_add_co_ci_u32_e64 v14, null, s11, v6, vcc_lo
	v_mov_b32_e32 v58, v127
	global_load_dword v13, v[13:14], off
	s_waitcnt vmcnt(2)
	ds_write_b32 v1, v0
	v_add_nc_u32_e32 v0, 0x200, v1
	s_waitcnt vmcnt(1)
	ds_write_b32 v0, v15
	v_add_nc_u32_e32 v0, 0x400, v1
	s_waitcnt vmcnt(0)
	ds_write_b32 v0, v13
	s_waitcnt lgkmcnt(0)
	s_barrier
	buffer_gl0_inv
	s_clause 0x2
	buffer_load_dword v0, off, s[20:23], 0 offset:56
	buffer_load_dword v51, off, s[20:23], 0 offset:192
	;; [unrolled: 1-line block ×3, first 2 shown]
	ds_read_b128 v[13:16], v3 offset:1024
	s_clause 0x20
	buffer_load_dword v48, off, s[20:23], 0 offset:188
	buffer_load_dword v31, off, s[20:23], 0 offset:120
	;; [unrolled: 1-line block ×33, first 2 shown]
	s_waitcnt vmcnt(35) lgkmcnt(0)
	v_mul_f32_e32 v53, v0, v13
	buffer_load_dword v0, off, s[20:23], 0 offset:52 ; 4-byte Folded Reload
	s_waitcnt vmcnt(0)
	v_mul_f32_e32 v17, v0, v14
	buffer_load_dword v0, off, s[20:23], 0 offset:48 ; 4-byte Folded Reload
	s_waitcnt vmcnt(0)
	;; [unrolled: 3-line block ×3, first 2 shown]
	v_mul_f32_e32 v1, v0, v16
	buffer_load_dword v0, off, s[20:23], 0 offset:60 ; 4-byte Folded Reload
	ds_read_b128 v[13:16], v3 offset:1040
	s_waitcnt lgkmcnt(0)
	v_mul_f32_e32 v62, v62, v16
	s_waitcnt vmcnt(0)
	v_mul_f32_e32 v56, v0, v13
	buffer_load_dword v0, off, s[20:23], 0 offset:40 ; 4-byte Folded Reload
	s_waitcnt vmcnt(0)
	v_mul_f32_e32 v0, v0, v14
	buffer_store_dword v0, off, s[20:23], 0 offset:40 ; 4-byte Folded Spill
	buffer_load_dword v0, off, s[20:23], 0 offset:12 ; 4-byte Folded Reload
	s_waitcnt vmcnt(0)
	v_mul_f32_e32 v0, v0, v15
	ds_read_b128 v[13:16], v3 offset:1056
	buffer_store_dword v0, off, s[20:23], 0 offset:12 ; 4-byte Folded Spill
	buffer_load_dword v0, off, s[20:23], 0 offset:20 ; 4-byte Folded Reload
	s_waitcnt lgkmcnt(0)
	v_mul_f32_e32 v64, v64, v13
	v_mul_f32_e32 v65, v65, v14
	v_mul_f32_e32 v67, v67, v15
	v_mul_f32_e32 v69, v69, v16
	ds_read_b128 v[13:16], v3 offset:1072
	s_waitcnt lgkmcnt(0)
	v_mul_f32_e32 v71, v71, v13
	v_mul_f32_e32 v72, v72, v14
	v_mul_f32_e32 v74, v74, v15
	v_mul_f32_e32 v94, v94, v16
	ds_read_b128 v[13:16], v3 offset:1088
	;; [unrolled: 6-line block ×4, first 2 shown]
	s_waitcnt lgkmcnt(0)
	v_mul_f32_e32 v57, v57, v15
	v_mul_f32_e32 v8, v8, v16
	s_waitcnt vmcnt(0)
	v_mul_f32_e32 v0, v0, v13
	buffer_store_dword v0, off, s[20:23], 0 offset:20 ; 4-byte Folded Spill
	buffer_load_dword v0, off, s[20:23], 0 offset:24 ; 4-byte Folded Reload
	s_waitcnt vmcnt(0)
	v_mul_f32_e32 v0, v0, v14
	ds_read_b128 v[13:16], v3 offset:1136
	buffer_store_dword v0, off, s[20:23], 0 offset:24 ; 4-byte Folded Spill
	buffer_load_dword v0, off, s[20:23], 0 offset:36 ; 4-byte Folded Reload
	s_waitcnt lgkmcnt(0)
	v_mul_f32_e32 v11, v11, v13
	v_mov_b32_e32 v18, v11
	v_mov_b32_e32 v11, v8
	s_waitcnt vmcnt(0)
	v_mul_f32_e32 v0, v0, v14
	buffer_store_dword v0, off, s[20:23], 0 offset:36 ; 4-byte Folded Spill
	buffer_load_dword v0, off, s[20:23], 0 offset:32 ; 4-byte Folded Reload
	s_waitcnt vmcnt(0)
	v_mul_f32_e32 v0, v0, v15
	buffer_store_dword v0, off, s[20:23], 0 offset:32 ; 4-byte Folded Spill
	buffer_load_dword v0, off, s[20:23], 0 offset:28 ; 4-byte Folded Reload
	s_waitcnt vmcnt(0)
	v_mul_f32_e32 v0, v0, v16
	ds_read_b128 v[13:16], v3 offset:1152
	buffer_store_dword v0, off, s[20:23], 0 offset:28 ; 4-byte Folded Spill
	buffer_load_dword v0, off, s[20:23], 0 offset:4 ; 4-byte Folded Reload
	s_waitcnt lgkmcnt(0)
	v_mul_f32_e32 v9, v9, v14
	v_mul_f32_e32 v10, v10, v15
	v_mov_b32_e32 v12, v9
	s_waitcnt vmcnt(0)
	v_mul_f32_e32 v0, v0, v13
	buffer_store_dword v0, off, s[20:23], 0 offset:4 ; 4-byte Folded Spill
	buffer_load_dword v0, off, s[20:23], 0 offset:16 ; 4-byte Folded Reload
	s_waitcnt vmcnt(0)
	v_mul_f32_e32 v0, v0, v16
	ds_read_b128 v[13:16], v3 offset:1168
	buffer_store_dword v0, off, s[20:23], 0 offset:16 ; 4-byte Folded Spill
	buffer_load_dword v0, off, s[20:23], 0  ; 4-byte Folded Reload
	s_waitcnt lgkmcnt(0)
	v_mul_f32_e32 v2, v2, v14
	v_mul_f32_e32 v7, v7, v15
	v_mov_b32_e32 v9, v2
	v_mov_b32_e32 v8, v7
	s_clause 0x1
	buffer_load_dword v2, off, s[20:23], 0 offset:24
	buffer_load_dword v7, off, s[20:23], 0 offset:4
	s_waitcnt vmcnt(2)
	v_mul_f32_e32 v0, v0, v13
	buffer_store_dword v0, off, s[20:23], 0 ; 4-byte Folded Spill
	buffer_load_dword v0, off, s[20:23], 0 offset:8 ; 4-byte Folded Reload
	s_waitcnt vmcnt(0)
	v_mul_f32_e32 v0, v0, v16
	ds_read_b128 v[13:16], v3 offset:1184
	buffer_store_dword v0, off, s[20:23], 0 offset:8 ; 4-byte Folded Spill
	s_waitcnt lgkmcnt(0)
	v_mul_f32_e32 v126, v126, v13
	v_mul_f32_e32 v125, v125, v14
	;; [unrolled: 1-line block ×4, first 2 shown]
	ds_read_b128 v[13:16], v3 offset:1200
	v_mov_b32_e32 v127, v126
	v_mov_b32_e32 v126, v125
	;; [unrolled: 1-line block ×5, first 2 shown]
	s_waitcnt lgkmcnt(0)
	v_mul_f32_e32 v121, v121, v13
	v_mul_f32_e32 v119, v119, v14
	;; [unrolled: 1-line block ×4, first 2 shown]
	ds_read_b128 v[13:16], v3 offset:1216
	v_mov_b32_e32 v122, v121
	v_mov_b32_e32 v121, v120
	;; [unrolled: 1-line block ×6, first 2 shown]
	s_waitcnt lgkmcnt(0)
	v_mul_f32_e32 v115, v115, v13
	v_mul_f32_e32 v114, v114, v14
	;; [unrolled: 1-line block ×4, first 2 shown]
	ds_read_b128 v[13:16], v3 offset:1232
	v_mov_b32_e32 v116, v115
	v_mov_b32_e32 v115, v114
	;; [unrolled: 1-line block ×7, first 2 shown]
	s_waitcnt lgkmcnt(0)
	v_mul_f32_e32 v108, v108, v13
	v_mul_f32_e32 v107, v107, v14
	;; [unrolled: 1-line block ×4, first 2 shown]
	ds_read_b128 v[13:16], v3 offset:1248
	v_mov_b32_e32 v109, v108
	v_mov_b32_e32 v108, v107
	;; [unrolled: 1-line block ×4, first 2 shown]
	s_waitcnt lgkmcnt(0)
	v_mul_f32_e32 v104, v104, v13
	v_mul_f32_e32 v102, v102, v14
	v_mul_f32_e32 v101, v101, v15
	v_mul_f32_e32 v100, v100, v16
	ds_read_b128 v[13:16], v3 offset:1264
	v_mov_b32_e32 v105, v104
	v_mov_b32_e32 v104, v103
	;; [unrolled: 1-line block ×6, first 2 shown]
	s_waitcnt lgkmcnt(0)
	v_mul_f32_e32 v98, v98, v13
	v_mul_f32_e32 v97, v97, v14
	;; [unrolled: 1-line block ×4, first 2 shown]
	ds_read_b128 v[13:16], v3 offset:1280
	v_mov_b32_e32 v99, v98
	v_mov_b32_e32 v98, v97
	;; [unrolled: 1-line block ×5, first 2 shown]
	s_waitcnt lgkmcnt(0)
	v_mul_f32_e32 v93, v93, v13
	v_mul_f32_e32 v92, v92, v14
	v_mul_f32_e32 v91, v91, v15
	v_mul_f32_e32 v90, v90, v16
	ds_read_b128 v[13:16], v3 offset:1296
	v_mov_b32_e32 v94, v93
	v_mov_b32_e32 v93, v92
	v_mov_b32_e32 v92, v91
	v_mov_b32_e32 v91, v90
	s_waitcnt lgkmcnt(0)
	v_mul_f32_e32 v89, v89, v13
	v_mul_f32_e32 v88, v88, v14
	v_mul_f32_e32 v87, v87, v15
	v_mul_f32_e32 v86, v86, v16
	ds_read_b128 v[13:16], v3 offset:1312
	v_mov_b32_e32 v90, v89
	v_mov_b32_e32 v89, v88
	v_mov_b32_e32 v88, v87
	v_mov_b32_e32 v87, v86
	;; [unrolled: 10-line block ×5, first 2 shown]
	v_mov_b32_e32 v74, v73
	v_mov_b32_e32 v73, v72
	;; [unrolled: 1-line block ×3, first 2 shown]
	s_waitcnt lgkmcnt(0)
	v_mul_f32_e32 v70, v70, v13
	v_mul_f32_e32 v68, v68, v14
	;; [unrolled: 1-line block ×4, first 2 shown]
	ds_read_b128 v[13:16], v3 offset:1376
	v_mov_b32_e32 v71, v70
	v_mov_b32_e32 v70, v69
	;; [unrolled: 1-line block ×9, first 2 shown]
	s_waitcnt lgkmcnt(0)
	v_mul_f32_e32 v61, v61, v13
	v_mul_f32_e32 v60, v60, v14
	;; [unrolled: 1-line block ×4, first 2 shown]
	ds_read_b128 v[13:16], v3 offset:1392
	v_mov_b32_e32 v62, v61
	buffer_load_dword v61, off, s[20:23], 0 offset:40 ; 4-byte Folded Reload
	s_waitcnt lgkmcnt(0)
	v_mul_f32_e32 v59, v59, v13
	v_mul_f32_e32 v54, v54, v14
	v_mul_f32_e32 v52, v52, v15
	v_mul_f32_e32 v51, v51, v16
	ds_read_b128 v[13:16], v3 offset:1408
	s_waitcnt lgkmcnt(0)
	v_mul_f32_e32 v48, v48, v13
	v_mul_f32_e32 v47, v47, v14
	v_mul_f32_e32 v50, v50, v15
	v_mul_f32_e32 v49, v49, v16
	ds_read_b128 v[13:16], v3 offset:1424
	;; [unrolled: 6-line block ×8, first 2 shown]
	s_waitcnt lgkmcnt(0)
	v_mul_f32_e32 v22, v22, v13
	v_add_co_u32 v13, vcc_lo, s6, v5
	v_mul_f32_e32 v21, v21, v14
	v_add_co_ci_u32_e64 v14, null, s7, v6, vcc_lo
	v_mul_f32_e32 v20, v20, v15
	v_mul_f32_e32 v19, v19, v16
	global_load_dword v0, v[13:14], off
	ds_read_b128 v[13:16], v3
	s_waitcnt vmcnt(0) lgkmcnt(0)
	v_fmac_f32_e32 v1, v0, v16
	v_fmac_f32_e32 v53, v0, v13
	v_fmac_f32_e32 v17, v0, v14
	v_fmac_f32_e32 v4, v0, v15
	ds_read_b128 v[13:16], v3 offset:16
	buffer_store_dword v1, off, s[20:23], 0 offset:44 ; 4-byte Folded Spill
	buffer_load_dword v1, off, s[20:23], 0 offset:12 ; 4-byte Folded Reload
	buffer_store_dword v17, off, s[20:23], 0 offset:52 ; 4-byte Folded Spill
	buffer_store_dword v4, off, s[20:23], 0 offset:48 ; 4-byte Folded Spill
	v_mov_b32_e32 v17, v10
	v_mov_b32_e32 v10, v57
	buffer_load_dword v4, off, s[20:23], 0 offset:36 ; 4-byte Folded Reload
	buffer_store_dword v53, off, s[20:23], 0 offset:56 ; 4-byte Folded Spill
	buffer_load_dword v53, off, s[20:23], 0 offset:32 ; 4-byte Folded Reload
	s_waitcnt lgkmcnt(0)
	v_fmac_f32_e32 v56, v0, v13
	v_fmac_f32_e32 v61, v0, v14
	;; [unrolled: 1-line block ×3, first 2 shown]
	buffer_store_dword v56, off, s[20:23], 0 offset:60 ; 4-byte Folded Spill
	v_mov_b32_e32 v56, v55
	s_clause 0x1
	buffer_load_dword v55, off, s[20:23], 0 offset:28
	buffer_load_dword v57, off, s[20:23], 0
	s_waitcnt vmcnt(4)
	v_fmac_f32_e32 v1, v0, v15
	ds_read_b128 v[13:16], v3 offset:32
	buffer_store_dword v1, off, s[20:23], 0 offset:12 ; 4-byte Folded Spill
	buffer_load_dword v1, off, s[20:23], 0 offset:20 ; 4-byte Folded Reload
	s_waitcnt lgkmcnt(0)
	v_fmac_f32_e32 v65, v0, v13
	v_fmac_f32_e32 v66, v0, v14
	v_fmac_f32_e32 v68, v0, v15
	v_fmac_f32_e32 v70, v0, v16
	ds_read_b128 v[13:16], v3 offset:48
	s_waitcnt lgkmcnt(0)
	v_fmac_f32_e32 v72, v0, v13
	v_fmac_f32_e32 v73, v0, v14
	v_fmac_f32_e32 v75, v0, v15
	v_fmac_f32_e32 v95, v0, v16
	ds_read_b128 v[13:16], v3 offset:64
	s_waitcnt lgkmcnt(0)
	v_fmac_f32_e32 v100, v0, v13
	v_fmac_f32_e32 v104, v0, v14
	v_fmac_f32_e32 v110, v0, v15
	v_fmac_f32_e32 v113, v0, v16
	ds_read_b128 v[13:16], v3 offset:80
	s_waitcnt lgkmcnt(0)
	v_fmac_f32_e32 v114, v0, v13
	v_fmac_f32_e32 v118, v0, v14
	v_fmac_f32_e32 v121, v0, v15
	v_fmac_f32_e32 v125, v0, v16
	ds_read_b128 v[13:16], v3 offset:96
	s_waitcnt lgkmcnt(0)
	v_fmac_f32_e32 v2, v0, v14
	v_fmac_f32_e32 v10, v0, v15
	v_fmac_f32_e32 v11, v0, v16
	s_waitcnt vmcnt(0)
	v_fmac_f32_e32 v1, v0, v13
	ds_read_b128 v[13:16], v3 offset:112
	buffer_store_dword v1, off, s[20:23], 0 offset:20 ; 4-byte Folded Spill
	s_waitcnt lgkmcnt(0)
	v_fmac_f32_e32 v18, v0, v13
	v_fmac_f32_e32 v4, v0, v14
	;; [unrolled: 1-line block ×4, first 2 shown]
	ds_read_b128 v[13:16], v3 offset:128
	buffer_store_dword v4, off, s[20:23], 0 offset:36 ; 4-byte Folded Spill
	buffer_store_dword v53, off, s[20:23], 0 offset:32 ; 4-byte Folded Spill
	s_waitcnt lgkmcnt(0)
	v_fmac_f32_e32 v7, v0, v13
	v_fmac_f32_e32 v12, v0, v14
	;; [unrolled: 1-line block ×3, first 2 shown]
	buffer_store_dword v7, off, s[20:23], 0 offset:4 ; 4-byte Folded Spill
	buffer_load_dword v7, off, s[20:23], 0 offset:16 ; 4-byte Folded Reload
	s_waitcnt vmcnt(0)
	v_fmac_f32_e32 v7, v0, v16
	ds_read_b128 v[13:16], v3 offset:144
	buffer_store_dword v7, off, s[20:23], 0 offset:16 ; 4-byte Folded Spill
	s_waitcnt lgkmcnt(0)
	v_fmac_f32_e32 v57, v0, v13
	buffer_load_dword v13, off, s[20:23], 0 offset:8 ; 4-byte Folded Reload
	v_fmac_f32_e32 v9, v0, v14
	v_fmac_f32_e32 v8, v0, v15
	buffer_store_dword v57, off, s[20:23], 0 ; 4-byte Folded Spill
	buffer_load_dword v57, off, s[20:23], 0 offset:60 ; 4-byte Folded Reload
	s_waitcnt vmcnt(1)
	v_fmac_f32_e32 v13, v0, v16
	buffer_store_dword v13, off, s[20:23], 0 offset:8 ; 4-byte Folded Spill
	ds_read_b128 v[13:16], v3 offset:160
	s_waitcnt lgkmcnt(0)
	v_fmac_f32_e32 v127, v0, v13
	v_fmac_f32_e32 v126, v0, v14
	v_fmac_f32_e32 v124, v0, v15
	v_fmac_f32_e32 v123, v0, v16
	ds_read_b128 v[13:16], v3 offset:176
	s_waitcnt lgkmcnt(0)
	v_fmac_f32_e32 v122, v0, v13
	v_fmac_f32_e32 v120, v0, v14
	v_fmac_f32_e32 v119, v0, v15
	v_fmac_f32_e32 v117, v0, v16
	;; [unrolled: 6-line block ×14, first 2 shown]
	ds_read_b128 v[13:16], v3 offset:384
	buffer_store_dword v59, off, s[20:23], 0 offset:200 ; 4-byte Folded Spill
	buffer_store_dword v52, off, s[20:23], 0 offset:196 ; 4-byte Folded Spill
	buffer_store_dword v51, off, s[20:23], 0 offset:192 ; 4-byte Folded Spill
	s_waitcnt lgkmcnt(0)
	v_fmac_f32_e32 v48, v0, v13
	v_fmac_f32_e32 v47, v0, v14
	v_fmac_f32_e32 v50, v0, v15
	v_fmac_f32_e32 v49, v0, v16
	ds_read_b128 v[13:16], v3 offset:400
	buffer_store_dword v48, off, s[20:23], 0 offset:188 ; 4-byte Folded Spill
	buffer_store_dword v47, off, s[20:23], 0 offset:184 ; 4-byte Folded Spill
	buffer_store_dword v50, off, s[20:23], 0 offset:180 ; 4-byte Folded Spill
	buffer_store_dword v49, off, s[20:23], 0 offset:176 ; 4-byte Folded Spill
	s_waitcnt lgkmcnt(0)
	v_fmac_f32_e32 v46, v0, v13
	v_fmac_f32_e32 v45, v0, v14
	v_fmac_f32_e32 v44, v0, v15
	v_fmac_f32_e32 v43, v0, v16
	ds_read_b128 v[13:16], v3 offset:416
	buffer_store_dword v46, off, s[20:23], 0 offset:168 ; 4-byte Folded Spill
	;; [unrolled: 10-line block ×7, first 2 shown]
	buffer_store_dword v23, off, s[20:23], 0 offset:64 ; 4-byte Folded Spill
	buffer_store_dword v26, off, s[20:23], 0 offset:92 ; 4-byte Folded Spill
	;; [unrolled: 1-line block ×3, first 2 shown]
	s_waitcnt lgkmcnt(0)
	v_fmac_f32_e32 v22, v0, v13
	v_fmac_f32_e32 v21, v0, v14
	;; [unrolled: 1-line block ×4, first 2 shown]
	buffer_load_dword v0, off, s[20:23], 0 offset:56 ; 4-byte Folded Reload
	ds_read_b128 v[13:16], v3 offset:512
	buffer_store_dword v22, off, s[20:23], 0 offset:96 ; 4-byte Folded Spill
	buffer_store_dword v21, off, s[20:23], 0 offset:88 ; 4-byte Folded Spill
	buffer_store_dword v20, off, s[20:23], 0 offset:80 ; 4-byte Folded Spill
	buffer_store_dword v19, off, s[20:23], 0 offset:132 ; 4-byte Folded Spill
	s_waitcnt vmcnt(0) lgkmcnt(0)
	v_fma_f32 v0, v0, v13, 0
	buffer_load_dword v13, off, s[20:23], 0 offset:52 ; 4-byte Folded Reload
	s_waitcnt vmcnt(0)
	v_fmac_f32_e32 v0, v13, v14
	buffer_load_dword v13, off, s[20:23], 0 offset:48 ; 4-byte Folded Reload
	s_waitcnt vmcnt(0)
	v_fmac_f32_e32 v0, v13, v15
	;; [unrolled: 3-line block ×3, first 2 shown]
	ds_read_b128 v[13:16], v3 offset:528
	s_waitcnt lgkmcnt(0)
	v_fmac_f32_e32 v0, v57, v13
	v_mov_b32_e32 v13, v61
	v_mov_b32_e32 v61, v62
	v_mov_b32_e32 v62, v63
	v_mov_b32_e32 v63, v64
	v_mov_b32_e32 v64, v65
	buffer_store_dword v13, off, s[20:23], 0 offset:40 ; 4-byte Folded Spill
	v_fmac_f32_e32 v0, v13, v14
	buffer_load_dword v13, off, s[20:23], 0 offset:12 ; 4-byte Folded Reload
	v_mov_b32_e32 v65, v66
	v_mov_b32_e32 v66, v67
	;; [unrolled: 1-line block ×68, first 2 shown]
	s_waitcnt vmcnt(0)
	v_fmac_f32_e32 v0, v13, v15
	v_fmac_f32_e32 v0, v62, v16
	ds_read_b128 v[13:16], v3 offset:544
	s_waitcnt lgkmcnt(0)
	v_fmac_f32_e32 v0, v64, v13
	v_fmac_f32_e32 v0, v65, v14
	v_fmac_f32_e32 v0, v67, v15
	v_fmac_f32_e32 v0, v69, v16
	ds_read_b128 v[13:16], v3 offset:560
	s_waitcnt lgkmcnt(0)
	v_fmac_f32_e32 v0, v71, v13
	v_fmac_f32_e32 v0, v72, v14
	;; [unrolled: 6-line block ×4, first 2 shown]
	v_fmac_f32_e32 v0, v120, v15
	v_fmac_f32_e32 v0, v124, v16
	ds_read_b128 v[13:16], v3 offset:608
	s_waitcnt lgkmcnt(0)
	v_fmac_f32_e32 v0, v1, v13
	v_mov_b32_e32 v1, v2
	v_mov_b32_e32 v2, v9
	;; [unrolled: 1-line block ×4, first 2 shown]
	v_fmac_f32_e32 v0, v1, v14
	buffer_store_dword v1, off, s[20:23], 0 offset:24 ; 4-byte Folded Spill
	v_mov_b32_e32 v1, v55
	v_mov_b32_e32 v55, v56
	v_fmac_f32_e32 v0, v57, v15
	buffer_store_dword v1, off, s[20:23], 0 offset:28 ; 4-byte Folded Spill
	v_fmac_f32_e32 v0, v8, v16
	ds_read_b128 v[13:16], v3 offset:624
	s_waitcnt lgkmcnt(0)
	v_fmac_f32_e32 v0, v11, v13
	v_fmac_f32_e32 v0, v4, v14
	;; [unrolled: 1-line block ×4, first 2 shown]
	buffer_load_dword v1, off, s[20:23], 0 offset:4 ; 4-byte Folded Reload
	ds_read_b128 v[13:16], v3 offset:640
	s_waitcnt vmcnt(0) lgkmcnt(0)
	v_fmac_f32_e32 v0, v1, v13
	buffer_load_dword v1, off, s[20:23], 0  ; 4-byte Folded Reload
	v_fmac_f32_e32 v0, v9, v14
	v_fmac_f32_e32 v0, v10, v15
	;; [unrolled: 1-line block ×3, first 2 shown]
	ds_read_b128 v[13:16], v3 offset:656
	v_mov_b32_e32 v7, v127
	s_waitcnt vmcnt(0) lgkmcnt(0)
	v_fmac_f32_e32 v0, v1, v13
	buffer_load_dword v1, off, s[20:23], 0 offset:8 ; 4-byte Folded Reload
	v_fmac_f32_e32 v0, v2, v14
	v_fmac_f32_e32 v0, v127, v15
	v_mov_b32_e32 v127, v58
	s_waitcnt vmcnt(0)
	v_fmac_f32_e32 v0, v1, v16
	ds_read_b128 v[13:16], v3 offset:672
	s_waitcnt lgkmcnt(0)
	v_fmac_f32_e32 v0, v126, v13
	v_fmac_f32_e32 v0, v125, v14
	v_fmac_f32_e32 v0, v123, v15
	v_fmac_f32_e32 v0, v122, v16
	ds_read_b128 v[13:16], v3 offset:688
	s_waitcnt lgkmcnt(0)
	v_fmac_f32_e32 v0, v121, v13
	v_fmac_f32_e32 v0, v119, v14
	v_fmac_f32_e32 v0, v118, v15
	;; [unrolled: 6-line block ×21, first 2 shown]
	v_fmac_f32_e32 v0, v25, v16
	ds_read_b128 v[13:16], v3 offset:1008
	s_waitcnt lgkmcnt(0)
	v_fmac_f32_e32 v0, v22, v13
	v_add_co_u32 v13, vcc_lo, s2, v5
	v_add_co_u32 v5, s0, v5, s16
	v_fmac_f32_e32 v0, v21, v14
	v_add_co_ci_u32_e64 v14, null, s3, v6, vcc_lo
	v_add_co_ci_u32_e64 v6, null, s17, v6, s0
	v_fmac_f32_e32 v0, v20, v15
	v_fmac_f32_e32 v0, v19, v16
	v_mul_f32_e32 v0, s12, v0
	global_store_dword v[13:14], v0, off
	s_clause 0x1
	buffer_load_dword v13, off, s[20:23], 0 offset:204
	buffer_load_dword v14, off, s[20:23], 0 offset:208
	s_waitcnt vmcnt(1)
	v_add_nc_u32_e32 v13, s14, v13
	v_mov_b32_e32 v0, v13
	buffer_store_dword v0, off, s[20:23], 0 offset:204 ; 4-byte Folded Spill
	buffer_store_dword v1, off, s[20:23], 0 offset:208 ; 4-byte Folded Spill
	s_clause 0x1
	buffer_load_dword v0, off, s[20:23], 0 offset:212
	buffer_load_dword v1, off, s[20:23], 0 offset:216
	s_waitcnt vmcnt(1)
	v_cmp_ge_i32_e32 vcc_lo, v13, v0
	s_or_b32 s18, vcc_lo, s18
	s_andn2_b32 exec_lo, exec_lo, s18
	s_cbranch_execnz .LBB1_2
; %bb.3:
	s_or_b32 exec_lo, exec_lo, s18
	s_clause 0x3
	buffer_load_dword v14, off, s[20:23], 0 offset:36
	buffer_load_dword v13, off, s[20:23], 0 offset:32
	;; [unrolled: 1-line block ×4, first 2 shown]
	v_mov_b32_e32 v17, v9
	v_mov_b32_e32 v20, v11
	buffer_load_dword v19, off, s[20:23], 0 ; 4-byte Folded Reload
	v_mov_b32_e32 v22, v8
	v_mov_b32_e32 v11, v57
	;; [unrolled: 1-line block ×3, first 2 shown]
	s_clause 0x2
	buffer_load_dword v8, off, s[20:23], 0 offset:8
	buffer_load_dword v21, off, s[20:23], 0 offset:24
	;; [unrolled: 1-line block ×3, first 2 shown]
	v_mov_b32_e32 v7, v126
	v_mov_b32_e32 v126, v125
	;; [unrolled: 1-line block ×66, first 2 shown]
	s_clause 0x2
	buffer_load_dword v61, off, s[20:23], 0 offset:12
	buffer_load_dword v59, off, s[20:23], 0 offset:40
	;; [unrolled: 1-line block ×3, first 2 shown]
	v_mov_b32_e32 v60, v18
	v_mov_b32_e32 v58, v127
	;; [unrolled: 1-line block ×3, first 2 shown]
	s_clause 0x4
	buffer_load_dword v55, off, s[20:23], 0 offset:56
	buffer_load_dword v54, off, s[20:23], 0 offset:52
	;; [unrolled: 1-line block ×5, first 2 shown]
	v_mov_b32_e32 v50, v12
	s_clause 0x1d
	buffer_load_dword v49, off, s[20:23], 0 offset:196
	buffer_load_dword v48, off, s[20:23], 0 offset:192
	;; [unrolled: 1-line block ×30, first 2 shown]
	v_mov_b32_e32 v25, v10
	v_mov_b32_e32 v10, v2
.LBB1_4:
	s_or_b32 exec_lo, exec_lo, s1
	s_clause 0x1
	buffer_load_dword v0, off, s[20:23], 0 offset:224
	buffer_load_dword v1, off, s[20:23], 0 offset:228
	s_waitcnt vmcnt(0)
	v_mad_u64_u32 v[0:1], null, s14, s13, v[0:1]
	v_ashrrev_i32_e32 v1, 31, v0
	v_lshlrev_b64 v[1:2], 2, v[0:1]
	v_add_co_u32 v1, vcc_lo, s2, v1
	v_add_co_ci_u32_e64 v2, null, s3, v2, vcc_lo
	global_store_dword v[1:2], v55, off
	global_store_dword v[1:2], v54, off offset:512
	global_store_dword v[1:2], v53, off offset:1024
	;; [unrolled: 1-line block ×3, first 2 shown]
	v_add_nc_u32_e32 v1, 0x200, v0
	buffer_load_dword v3, off, s[20:23], 0 offset:16 ; 4-byte Folded Reload
	v_ashrrev_i32_e32 v2, 31, v1
	v_lshlrev_b64 v[1:2], 2, v[1:2]
	v_add_co_u32 v1, vcc_lo, s2, v1
	v_add_co_ci_u32_e64 v2, null, s3, v2, vcc_lo
	global_store_dword v[1:2], v57, off
	v_add_nc_u32_e32 v1, 0x280, v0
	v_ashrrev_i32_e32 v2, 31, v1
	v_lshlrev_b64 v[1:2], 2, v[1:2]
	v_add_co_u32 v1, vcc_lo, s2, v1
	v_add_co_ci_u32_e64 v2, null, s3, v2, vcc_lo
	global_store_dword v[1:2], v59, off
	v_add_nc_u32_e32 v1, 0x300, v0
	;; [unrolled: 6-line block ×31, first 2 shown]
	v_ashrrev_i32_e32 v2, 31, v1
	v_lshlrev_b64 v[1:2], 2, v[1:2]
	v_add_co_u32 v1, vcc_lo, s2, v1
	v_add_co_ci_u32_e64 v2, null, s3, v2, vcc_lo
	s_waitcnt vmcnt(0)
	global_store_dword v[1:2], v3, off
	v_add_nc_u32_e32 v1, 0x1200, v0
	buffer_load_dword v3, off, s[20:23], 0 offset:76 ; 4-byte Folded Reload
	v_ashrrev_i32_e32 v2, 31, v1
	v_lshlrev_b64 v[1:2], 2, v[1:2]
	v_add_co_u32 v1, vcc_lo, s2, v1
	v_add_co_ci_u32_e64 v2, null, s3, v2, vcc_lo
	global_store_dword v[1:2], v19, off
	v_add_nc_u32_e32 v1, 0x1280, v0
	v_ashrrev_i32_e32 v2, 31, v1
	v_lshlrev_b64 v[1:2], 2, v[1:2]
	v_add_co_u32 v1, vcc_lo, s2, v1
	v_add_co_ci_u32_e64 v2, null, s3, v2, vcc_lo
	global_store_dword v[1:2], v10, off
	v_add_nc_u32_e32 v1, 0x1300, v0
	;; [unrolled: 6-line block ×82, first 2 shown]
	v_ashrrev_i32_e32 v2, 31, v1
	v_lshlrev_b64 v[1:2], 2, v[1:2]
	v_add_co_u32 v1, vcc_lo, s2, v1
	v_add_co_ci_u32_e64 v2, null, s3, v2, vcc_lo
	s_waitcnt vmcnt(0)
	global_store_dword v[1:2], v3, off
	buffer_load_dword v3, off, s[20:23], 0 offset:72 ; 4-byte Folded Reload
	v_add_nc_u32_e32 v1, 0x3b80, v0
	v_ashrrev_i32_e32 v2, 31, v1
	v_lshlrev_b64 v[1:2], 2, v[1:2]
	v_add_co_u32 v1, vcc_lo, s2, v1
	v_add_co_ci_u32_e64 v2, null, s3, v2, vcc_lo
	s_waitcnt vmcnt(0)
	global_store_dword v[1:2], v3, off
	buffer_load_dword v3, off, s[20:23], 0 offset:68 ; 4-byte Folded Reload
	v_add_nc_u32_e32 v1, 0x3c00, v0
	;; [unrolled: 8-line block ×3, first 2 shown]
	v_ashrrev_i32_e32 v2, 31, v1
	v_lshlrev_b64 v[1:2], 2, v[1:2]
	v_add_co_u32 v1, vcc_lo, s2, v1
	v_add_co_ci_u32_e64 v2, null, s3, v2, vcc_lo
	s_waitcnt vmcnt(0)
	global_store_dword v[1:2], v3, off
	v_add_nc_u32_e32 v1, 0x3d00, v0
	v_ashrrev_i32_e32 v2, 31, v1
	v_lshlrev_b64 v[1:2], 2, v[1:2]
	v_add_co_u32 v1, vcc_lo, s2, v1
	v_add_co_ci_u32_e64 v2, null, s3, v2, vcc_lo
	global_store_dword v[1:2], v24, off
	v_add_nc_u32_e32 v1, 0x3d80, v0
	v_ashrrev_i32_e32 v2, 31, v1
	v_lshlrev_b64 v[1:2], 2, v[1:2]
	v_add_co_u32 v1, vcc_lo, s2, v1
	v_add_co_ci_u32_e64 v2, null, s3, v2, vcc_lo
	;; [unrolled: 6-line block ×4, first 2 shown]
	global_store_dword v[1:2], v12, off
	v_add_nc_u32_e32 v1, 0x3f00, v0
	v_add_nc_u32_e32 v0, 0x3f80, v0
	v_ashrrev_i32_e32 v2, 31, v1
	v_lshlrev_b64 v[1:2], 2, v[1:2]
	v_add_co_u32 v1, vcc_lo, s2, v1
	v_add_co_ci_u32_e64 v2, null, s3, v2, vcc_lo
	global_store_dword v[1:2], v6, off
	v_ashrrev_i32_e32 v1, 31, v0
	v_lshlrev_b64 v[0:1], 2, v[0:1]
	v_add_co_u32 v0, vcc_lo, s2, v0
	v_add_co_ci_u32_e64 v1, null, s3, v1, vcc_lo
	global_store_dword v[0:1], v34, off
	s_endpgm
	.section	.rodata,"a",@progbits
	.p2align	6, 0x0
	.amdhsa_kernel _ZL21gated_linear_attn_f32ILi128EEviiiifPKfS1_S1_S1_S1_Pf
		.amdhsa_group_segment_fixed_size 1536
		.amdhsa_private_segment_fixed_size 236
		.amdhsa_kernarg_size 72
		.amdhsa_user_sgpr_count 6
		.amdhsa_user_sgpr_private_segment_buffer 1
		.amdhsa_user_sgpr_dispatch_ptr 0
		.amdhsa_user_sgpr_queue_ptr 0
		.amdhsa_user_sgpr_kernarg_segment_ptr 1
		.amdhsa_user_sgpr_dispatch_id 0
		.amdhsa_user_sgpr_flat_scratch_init 0
		.amdhsa_user_sgpr_private_segment_size 0
		.amdhsa_wavefront_size32 1
		.amdhsa_uses_dynamic_stack 0
		.amdhsa_system_sgpr_private_segment_wavefront_offset 1
		.amdhsa_system_sgpr_workgroup_id_x 1
		.amdhsa_system_sgpr_workgroup_id_y 0
		.amdhsa_system_sgpr_workgroup_id_z 0
		.amdhsa_system_sgpr_workgroup_info 0
		.amdhsa_system_vgpr_workitem_id 0
		.amdhsa_next_free_vgpr 128
		.amdhsa_next_free_sgpr 24
		.amdhsa_reserve_vcc 1
		.amdhsa_reserve_flat_scratch 0
		.amdhsa_float_round_mode_32 0
		.amdhsa_float_round_mode_16_64 0
		.amdhsa_float_denorm_mode_32 3
		.amdhsa_float_denorm_mode_16_64 3
		.amdhsa_dx10_clamp 1
		.amdhsa_ieee_mode 1
		.amdhsa_fp16_overflow 0
		.amdhsa_workgroup_processor_mode 1
		.amdhsa_memory_ordered 1
		.amdhsa_forward_progress 1
		.amdhsa_shared_vgpr_count 0
		.amdhsa_exception_fp_ieee_invalid_op 0
		.amdhsa_exception_fp_denorm_src 0
		.amdhsa_exception_fp_ieee_div_zero 0
		.amdhsa_exception_fp_ieee_overflow 0
		.amdhsa_exception_fp_ieee_underflow 0
		.amdhsa_exception_fp_ieee_inexact 0
		.amdhsa_exception_int_div_zero 0
	.end_amdhsa_kernel
	.section	.text._ZL21gated_linear_attn_f32ILi128EEviiiifPKfS1_S1_S1_S1_Pf,"axG",@progbits,_ZL21gated_linear_attn_f32ILi128EEviiiifPKfS1_S1_S1_S1_Pf,comdat
.Lfunc_end1:
	.size	_ZL21gated_linear_attn_f32ILi128EEviiiifPKfS1_S1_S1_S1_Pf, .Lfunc_end1-_ZL21gated_linear_attn_f32ILi128EEviiiifPKfS1_S1_S1_S1_Pf
                                        ; -- End function
	.set _ZL21gated_linear_attn_f32ILi128EEviiiifPKfS1_S1_S1_S1_Pf.num_vgpr, 128
	.set _ZL21gated_linear_attn_f32ILi128EEviiiifPKfS1_S1_S1_S1_Pf.num_agpr, 0
	.set _ZL21gated_linear_attn_f32ILi128EEviiiifPKfS1_S1_S1_S1_Pf.numbered_sgpr, 24
	.set _ZL21gated_linear_attn_f32ILi128EEviiiifPKfS1_S1_S1_S1_Pf.num_named_barrier, 0
	.set _ZL21gated_linear_attn_f32ILi128EEviiiifPKfS1_S1_S1_S1_Pf.private_seg_size, 236
	.set _ZL21gated_linear_attn_f32ILi128EEviiiifPKfS1_S1_S1_S1_Pf.uses_vcc, 1
	.set _ZL21gated_linear_attn_f32ILi128EEviiiifPKfS1_S1_S1_S1_Pf.uses_flat_scratch, 0
	.set _ZL21gated_linear_attn_f32ILi128EEviiiifPKfS1_S1_S1_S1_Pf.has_dyn_sized_stack, 0
	.set _ZL21gated_linear_attn_f32ILi128EEviiiifPKfS1_S1_S1_S1_Pf.has_recursion, 0
	.set _ZL21gated_linear_attn_f32ILi128EEviiiifPKfS1_S1_S1_S1_Pf.has_indirect_call, 0
	.section	.AMDGPU.csdata,"",@progbits
; Kernel info:
; codeLenInByte = 17856
; TotalNumSgprs: 26
; NumVgprs: 128
; ScratchSize: 236
; MemoryBound: 0
; FloatMode: 240
; IeeeMode: 1
; LDSByteSize: 1536 bytes/workgroup (compile time only)
; SGPRBlocks: 0
; VGPRBlocks: 15
; NumSGPRsForWavesPerEU: 26
; NumVGPRsForWavesPerEU: 128
; Occupancy: 8
; WaveLimiterHint : 1
; COMPUTE_PGM_RSRC2:SCRATCH_EN: 1
; COMPUTE_PGM_RSRC2:USER_SGPR: 6
; COMPUTE_PGM_RSRC2:TRAP_HANDLER: 0
; COMPUTE_PGM_RSRC2:TGID_X_EN: 1
; COMPUTE_PGM_RSRC2:TGID_Y_EN: 0
; COMPUTE_PGM_RSRC2:TGID_Z_EN: 0
; COMPUTE_PGM_RSRC2:TIDIG_COMP_CNT: 0
	.section	.AMDGPU.gpr_maximums,"",@progbits
	.set amdgpu.max_num_vgpr, 0
	.set amdgpu.max_num_agpr, 0
	.set amdgpu.max_num_sgpr, 0
	.section	.AMDGPU.csdata,"",@progbits
	.type	__hip_cuid_a40dd603a2afdfdd,@object ; @__hip_cuid_a40dd603a2afdfdd
	.section	.bss,"aw",@nobits
	.globl	__hip_cuid_a40dd603a2afdfdd
__hip_cuid_a40dd603a2afdfdd:
	.byte	0                               ; 0x0
	.size	__hip_cuid_a40dd603a2afdfdd, 1

	.ident	"AMD clang version 22.0.0git (https://github.com/RadeonOpenCompute/llvm-project roc-7.2.4 26084 f58b06dce1f9c15707c5f808fd002e18c2accf7e)"
	.section	".note.GNU-stack","",@progbits
	.addrsig
	.addrsig_sym __hip_cuid_a40dd603a2afdfdd
	.amdgpu_metadata
---
amdhsa.kernels:
  - .args:
      - .offset:         0
        .size:           4
        .value_kind:     by_value
      - .offset:         4
        .size:           4
        .value_kind:     by_value
      - .offset:         8
        .size:           4
        .value_kind:     by_value
      - .offset:         12
        .size:           4
        .value_kind:     by_value
      - .offset:         16
        .size:           4
        .value_kind:     by_value
      - .address_space:  global
        .offset:         24
        .size:           8
        .value_kind:     global_buffer
      - .address_space:  global
        .offset:         32
        .size:           8
        .value_kind:     global_buffer
      - .address_space:  global
        .offset:         40
        .size:           8
        .value_kind:     global_buffer
      - .address_space:  global
        .offset:         48
        .size:           8
        .value_kind:     global_buffer
      - .address_space:  global
        .offset:         56
        .size:           8
        .value_kind:     global_buffer
      - .address_space:  global
        .offset:         64
        .size:           8
        .value_kind:     global_buffer
    .group_segment_fixed_size: 768
    .kernarg_segment_align: 8
    .kernarg_segment_size: 72
    .language:       OpenCL C
    .language_version:
      - 2
      - 0
    .max_flat_workgroup_size: 1024
    .name:           _ZL21gated_linear_attn_f32ILi64EEviiiifPKfS1_S1_S1_S1_Pf
    .private_segment_fixed_size: 28
    .sgpr_count:     26
    .sgpr_spill_count: 0
    .symbol:         _ZL21gated_linear_attn_f32ILi64EEviiiifPKfS1_S1_S1_S1_Pf.kd
    .uniform_work_group_size: 1
    .uses_dynamic_stack: false
    .vgpr_count:     128
    .vgpr_spill_count: 6
    .wavefront_size: 32
    .workgroup_processor_mode: 1
  - .args:
      - .offset:         0
        .size:           4
        .value_kind:     by_value
      - .offset:         4
        .size:           4
        .value_kind:     by_value
      - .offset:         8
        .size:           4
        .value_kind:     by_value
      - .offset:         12
        .size:           4
        .value_kind:     by_value
      - .offset:         16
        .size:           4
        .value_kind:     by_value
      - .address_space:  global
        .offset:         24
        .size:           8
        .value_kind:     global_buffer
      - .address_space:  global
        .offset:         32
        .size:           8
        .value_kind:     global_buffer
      - .address_space:  global
        .offset:         40
        .size:           8
        .value_kind:     global_buffer
      - .address_space:  global
        .offset:         48
        .size:           8
        .value_kind:     global_buffer
      - .address_space:  global
        .offset:         56
        .size:           8
        .value_kind:     global_buffer
      - .address_space:  global
        .offset:         64
        .size:           8
        .value_kind:     global_buffer
    .group_segment_fixed_size: 1536
    .kernarg_segment_align: 8
    .kernarg_segment_size: 72
    .language:       OpenCL C
    .language_version:
      - 2
      - 0
    .max_flat_workgroup_size: 1024
    .name:           _ZL21gated_linear_attn_f32ILi128EEviiiifPKfS1_S1_S1_S1_Pf
    .private_segment_fixed_size: 236
    .sgpr_count:     26
    .sgpr_spill_count: 0
    .symbol:         _ZL21gated_linear_attn_f32ILi128EEviiiifPKfS1_S1_S1_S1_Pf.kd
    .uniform_work_group_size: 1
    .uses_dynamic_stack: false
    .vgpr_count:     128
    .vgpr_spill_count: 122
    .wavefront_size: 32
    .workgroup_processor_mode: 1
amdhsa.target:   amdgcn-amd-amdhsa--gfx1030
amdhsa.version:
  - 1
  - 2
...

	.end_amdgpu_metadata
